;; amdgpu-corpus repo=ROCm/rocFFT kind=compiled arch=gfx1030 opt=O3
	.text
	.amdgcn_target "amdgcn-amd-amdhsa--gfx1030"
	.amdhsa_code_object_version 6
	.protected	bluestein_single_back_len1792_dim1_half_op_CI_CI ; -- Begin function bluestein_single_back_len1792_dim1_half_op_CI_CI
	.globl	bluestein_single_back_len1792_dim1_half_op_CI_CI
	.p2align	8
	.type	bluestein_single_back_len1792_dim1_half_op_CI_CI,@function
bluestein_single_back_len1792_dim1_half_op_CI_CI: ; @bluestein_single_back_len1792_dim1_half_op_CI_CI
; %bb.0:
	s_load_dwordx4 s[16:19], s[4:5], 0x28
	v_mul_u32_u24_e32 v1, 0x125, v0
	v_mov_b32_e32 v21, 0
	s_mov_b32 s0, exec_lo
	v_lshrrev_b32_e32 v1, 16, v1
	v_add_nc_u32_e32 v20, s6, v1
	s_waitcnt lgkmcnt(0)
	v_cmpx_gt_u64_e64 s[16:17], v[20:21]
	s_cbranch_execz .LBB0_10
; %bb.1:
	s_clause 0x1
	s_load_dwordx4 s[8:11], s[4:5], 0x18
	s_load_dwordx4 s[0:3], s[4:5], 0x0
	v_mul_lo_u16 v1, 0xe0, v1
	s_load_dwordx2 s[4:5], s[4:5], 0x38
                                        ; implicit-def: $vgpr63
	v_sub_nc_u16 v0, v0, v1
	v_and_b32_e32 v43, 0xffff, v0
	v_lshlrev_b32_e32 v42, 2, v43
	v_lshlrev_b32_e32 v47, 4, v43
	s_waitcnt lgkmcnt(0)
	s_load_dwordx4 s[12:15], s[8:9], 0x0
	v_add_co_u32 v11, s6, s0, v42
	v_add_co_ci_u32_e64 v12, null, s1, 0, s6
	s_clause 0x1
	global_load_dword v44, v42, s[0:1]
	global_load_dword v46, v42, s[0:1] offset:1792
	s_waitcnt lgkmcnt(0)
	v_mad_u64_u32 v[1:2], null, s14, v20, 0
	v_mad_u64_u32 v[3:4], null, s12, v43, 0
	s_mul_i32 s6, s13, 0x700
	s_mul_hi_u32 s7, s12, 0x700
	s_mul_i32 s8, s12, 0x700
	s_add_i32 s7, s7, s6
	s_mul_i32 s6, s13, 0xffffee80
	v_mad_u64_u32 v[5:6], null, s15, v20, v[2:3]
	s_sub_i32 s6, s6, s12
	v_mad_u64_u32 v[6:7], null, s13, v43, v[4:5]
	v_mov_b32_e32 v2, v5
	v_lshlrev_b64 v[1:2], 2, v[1:2]
	v_mov_b32_e32 v4, v6
	v_add_co_u32 v1, vcc_lo, s18, v1
	v_lshlrev_b64 v[3:4], 2, v[3:4]
	v_add_co_ci_u32_e32 v2, vcc_lo, s19, v2, vcc_lo
	v_add_co_u32 v1, vcc_lo, v1, v3
	v_add_co_ci_u32_e32 v2, vcc_lo, v2, v4, vcc_lo
	v_add_co_u32 v3, vcc_lo, v1, s8
	v_add_co_ci_u32_e32 v4, vcc_lo, s7, v2, vcc_lo
	global_load_dword v13, v[1:2], off
	v_add_co_u32 v5, vcc_lo, v3, s8
	global_load_dword v14, v[3:4], off
	v_add_co_ci_u32_e32 v6, vcc_lo, s7, v4, vcc_lo
	v_add_co_u32 v1, vcc_lo, v5, s8
	v_add_co_ci_u32_e32 v2, vcc_lo, s7, v6, vcc_lo
	v_add_co_u32 v7, vcc_lo, 0x800, v11
	v_add_co_ci_u32_e32 v8, vcc_lo, 0, v12, vcc_lo
	v_mad_u64_u32 v[3:4], null, 0xffffee80, s12, v[1:2]
	s_clause 0x1
	global_load_dword v15, v[5:6], off
	global_load_dword v16, v[1:2], off
	v_add_co_u32 v9, vcc_lo, 0x1000, v11
	v_add_co_ci_u32_e32 v10, vcc_lo, 0, v12, vcc_lo
	v_add_nc_u32_e32 v4, s6, v4
	global_load_dword v45, v[7:8], off offset:1536
	v_add_co_u32 v1, vcc_lo, v3, s8
	global_load_dword v41, v[9:10], off offset:1280
	v_add_co_ci_u32_e32 v2, vcc_lo, s7, v4, vcc_lo
	v_add_co_u32 v5, vcc_lo, v1, s8
	v_add_co_ci_u32_e32 v6, vcc_lo, s7, v2, vcc_lo
	global_load_dword v17, v[3:4], off
	s_clause 0x1
	global_load_dword v40, v42, s[0:1] offset:896
	global_load_dword v39, v[7:8], off offset:640
	global_load_dword v7, v[1:2], off
	global_load_dword v8, v[5:6], off
	v_add_co_u32 v1, vcc_lo, v5, s8
	v_add_co_ci_u32_e32 v2, vcc_lo, s7, v6, vcc_lo
	v_add_co_u32 v3, vcc_lo, 0x1800, v11
	v_add_co_ci_u32_e32 v4, vcc_lo, 0, v12, vcc_lo
	global_load_dword v1, v[1:2], off
	s_clause 0x1
	global_load_dword v38, v[9:10], off offset:384
	global_load_dword v37, v[3:4], off offset:128
	v_add_nc_u32_e32 v2, 0x700, v42
	v_add_nc_u32_e32 v3, 0xe00, v42
	;; [unrolled: 1-line block ×3, first 2 shown]
	s_load_dwordx4 s[8:11], s[10:11], 0x0
	v_cmp_gt_u16_e32 vcc_lo, 32, v0
	s_waitcnt vmcnt(13)
	v_lshrrev_b32_e32 v5, 16, v13
	v_mul_f16_sdwa v6, v44, v13 dst_sel:DWORD dst_unused:UNUSED_PAD src0_sel:WORD_1 src1_sel:DWORD
	s_waitcnt vmcnt(12)
	v_lshrrev_b32_e32 v10, 16, v14
	v_mul_f16_sdwa v11, v46, v14 dst_sel:DWORD dst_unused:UNUSED_PAD src0_sel:WORD_1 src1_sel:DWORD
	v_mul_f16_sdwa v9, v44, v5 dst_sel:DWORD dst_unused:UNUSED_PAD src0_sel:WORD_1 src1_sel:DWORD
	v_fma_f16 v5, v44, v5, -v6
	v_mul_f16_sdwa v12, v46, v10 dst_sel:DWORD dst_unused:UNUSED_PAD src0_sel:WORD_1 src1_sel:DWORD
	v_fma_f16 v10, v46, v10, -v11
	v_fmac_f16_e32 v9, v44, v13
	v_fmac_f16_e32 v12, v46, v14
	v_pack_b32_f16 v5, v9, v5
	s_waitcnt vmcnt(11)
	v_lshrrev_b32_e32 v6, 16, v15
	s_waitcnt vmcnt(10)
	v_lshrrev_b32_e32 v13, 16, v16
	v_pack_b32_f16 v10, v12, v10
	s_waitcnt vmcnt(9)
	v_mul_f16_sdwa v11, v45, v15 dst_sel:DWORD dst_unused:UNUSED_PAD src0_sel:WORD_1 src1_sel:DWORD
	v_mul_f16_sdwa v9, v45, v6 dst_sel:DWORD dst_unused:UNUSED_PAD src0_sel:WORD_1 src1_sel:DWORD
	ds_write_b32 v42, v10 offset:1792
	s_waitcnt vmcnt(8)
	v_mul_f16_sdwa v14, v41, v16 dst_sel:DWORD dst_unused:UNUSED_PAD src0_sel:WORD_1 src1_sel:DWORD
	v_fma_f16 v6, v45, v6, -v11
	v_fmac_f16_e32 v9, v45, v15
	v_mul_f16_sdwa v11, v41, v13 dst_sel:DWORD dst_unused:UNUSED_PAD src0_sel:WORD_1 src1_sel:DWORD
	v_fma_f16 v12, v41, v13, -v14
	s_waitcnt vmcnt(7)
	v_lshrrev_b32_e32 v13, 16, v17
	v_pack_b32_f16 v6, v9, v6
	s_waitcnt vmcnt(6)
	v_mul_f16_sdwa v9, v40, v17 dst_sel:DWORD dst_unused:UNUSED_PAD src0_sel:WORD_1 src1_sel:DWORD
	s_waitcnt vmcnt(3)
	v_lshrrev_b32_e32 v14, 16, v8
	v_mul_f16_sdwa v10, v40, v13 dst_sel:DWORD dst_unused:UNUSED_PAD src0_sel:WORD_1 src1_sel:DWORD
	v_fmac_f16_e32 v11, v41, v16
	ds_write_b32 v42, v6 offset:3584
	v_lshrrev_b32_e32 v6, 16, v7
	v_fma_f16 v9, v40, v13, -v9
	v_mul_f16_sdwa v13, v39, v7 dst_sel:DWORD dst_unused:UNUSED_PAD src0_sel:WORD_1 src1_sel:DWORD
	s_waitcnt vmcnt(2)
	v_lshrrev_b32_e32 v16, 16, v1
	v_fmac_f16_e32 v10, v40, v17
	v_mul_f16_sdwa v15, v39, v6 dst_sel:DWORD dst_unused:UNUSED_PAD src0_sel:WORD_1 src1_sel:DWORD
	s_waitcnt vmcnt(1)
	v_mul_f16_sdwa v17, v38, v14 dst_sel:DWORD dst_unused:UNUSED_PAD src0_sel:WORD_1 src1_sel:DWORD
	v_fma_f16 v6, v39, v6, -v13
	v_mul_f16_sdwa v13, v38, v8 dst_sel:DWORD dst_unused:UNUSED_PAD src0_sel:WORD_1 src1_sel:DWORD
	s_waitcnt vmcnt(0)
	v_mul_f16_sdwa v18, v37, v1 dst_sel:DWORD dst_unused:UNUSED_PAD src0_sel:WORD_1 src1_sel:DWORD
	v_mul_f16_sdwa v19, v37, v16 dst_sel:DWORD dst_unused:UNUSED_PAD src0_sel:WORD_1 src1_sel:DWORD
	v_fmac_f16_e32 v15, v39, v7
	v_fmac_f16_e32 v17, v38, v8
	v_fma_f16 v7, v38, v14, -v13
	v_fma_f16 v8, v37, v16, -v18
	v_fmac_f16_e32 v19, v37, v1
	v_pack_b32_f16 v1, v11, v12
	v_pack_b32_f16 v9, v10, v9
	;; [unrolled: 1-line block ×5, first 2 shown]
	ds_write_b32 v42, v1 offset:5376
	ds_write2_b32 v42, v5, v9 offset1:224
	ds_write_b32 v42, v6 offset:2688
	ds_write_b32 v42, v7 offset:4480
	;; [unrolled: 1-line block ×3, first 2 shown]
	s_waitcnt lgkmcnt(0)
	s_barrier
	buffer_gl0_inv
	ds_read2_b32 v[5:6], v42 offset1:224
	ds_read2_b32 v[7:8], v2 offset1:224
	;; [unrolled: 1-line block ×4, first 2 shown]
	v_and_b32_e32 v17, 3, v43
	v_add_co_u32 v1, null, 0xe0, v43
	s_waitcnt lgkmcnt(0)
	s_barrier
	v_mad_u64_u32 v[13:14], null, v17, 12, s[2:3]
	v_lshlrev_b32_e32 v50, 4, v1
	buffer_gl0_inv
	v_pk_add_f16 v9, v5, v9 neg_lo:[0,1] neg_hi:[0,1]
	v_pk_add_f16 v10, v6, v10 neg_lo:[0,1] neg_hi:[0,1]
	;; [unrolled: 1-line block ×4, first 2 shown]
	v_lshrrev_b32_e32 v16, 16, v9
	v_lshrrev_b32_e32 v18, 16, v10
	v_pk_fma_f16 v5, v5, 2.0, v9 op_sel_hi:[1,0,1] neg_lo:[0,0,1] neg_hi:[0,0,1]
	v_pk_fma_f16 v7, v7, 2.0, v11 op_sel_hi:[1,0,1] neg_lo:[0,0,1] neg_hi:[0,0,1]
	v_sub_f16_sdwa v15, v9, v11 dst_sel:DWORD dst_unused:UNUSED_PAD src0_sel:DWORD src1_sel:WORD_1
	v_pk_fma_f16 v6, v6, 2.0, v10 op_sel_hi:[1,0,1] neg_lo:[0,0,1] neg_hi:[0,0,1]
	v_pk_fma_f16 v8, v8, 2.0, v12 op_sel_hi:[1,0,1] neg_lo:[0,0,1] neg_hi:[0,0,1]
	v_add_f16_e32 v21, v16, v11
	v_sub_f16_sdwa v19, v10, v12 dst_sel:DWORD dst_unused:UNUSED_PAD src0_sel:DWORD src1_sel:WORD_1
	v_add_f16_e32 v12, v18, v12
	v_pk_add_f16 v7, v5, v7 neg_lo:[0,1] neg_hi:[0,1]
	v_fma_f16 v22, v9, 2.0, -v15
	v_pk_add_f16 v11, v6, v8 neg_lo:[0,1] neg_hi:[0,1]
	v_fma_f16 v16, v16, 2.0, -v21
	v_fma_f16 v10, v10, 2.0, -v19
	;; [unrolled: 1-line block ×3, first 2 shown]
	v_pk_fma_f16 v5, v5, 2.0, v7 op_sel_hi:[1,0,1] neg_lo:[0,0,1] neg_hi:[0,0,1]
	v_pk_fma_f16 v9, v6, 2.0, v11 op_sel_hi:[1,0,1] neg_lo:[0,0,1] neg_hi:[0,0,1]
	v_pack_b32_f16 v8, v15, v21
	v_pack_b32_f16 v6, v22, v16
	;; [unrolled: 1-line block ×4, first 2 shown]
	ds_write_b128 v47, v[5:8]
	ds_write_b128 v50, v[9:12]
	s_waitcnt lgkmcnt(0)
	s_barrier
	buffer_gl0_inv
	global_load_dwordx3 v[8:10], v[13:14], off
	ds_read2_b32 v[5:6], v42 offset1:224
	ds_read2_b32 v[11:12], v2 offset1:224
	;; [unrolled: 1-line block ×4, first 2 shown]
	v_lshlrev_b32_e32 v7, 2, v1
	v_and_or_b32 v19, 0x3f0, v42, v17
	v_and_b32_e32 v21, 15, v43
	s_waitcnt vmcnt(0) lgkmcnt(0)
	s_barrier
	v_and_or_b32 v22, 0x7f0, v7, v17
	v_lshlrev_b32_e32 v49, 2, v19
	v_mad_u64_u32 v[17:18], null, v21, 12, s[2:3]
	buffer_gl0_inv
	v_lshlrev_b32_e32 v48, 2, v22
	v_lshrrev_b32_e32 v19, 16, v5
	v_lshrrev_b32_e32 v22, 16, v11
	;; [unrolled: 1-line block ×8, first 2 shown]
	v_mul_f16_sdwa v29, v22, v8 dst_sel:DWORD dst_unused:UNUSED_PAD src0_sel:DWORD src1_sel:WORD_1
	v_mul_f16_sdwa v30, v11, v8 dst_sel:DWORD dst_unused:UNUSED_PAD src0_sel:DWORD src1_sel:WORD_1
	;; [unrolled: 1-line block ×12, first 2 shown]
	v_fma_f16 v11, v11, v8, -v29
	v_fmac_f16_e32 v30, v22, v8
	v_fma_f16 v13, v13, v9, -v31
	v_fmac_f16_e32 v32, v23, v9
	;; [unrolled: 2-line block ×6, first 2 shown]
	v_sub_f16_e32 v13, v5, v13
	v_sub_f16_e32 v22, v19, v32
	;; [unrolled: 1-line block ×8, first 2 shown]
	v_fma_f16 v5, v5, 2.0, -v13
	v_fma_f16 v19, v19, 2.0, -v22
	;; [unrolled: 1-line block ×8, first 2 shown]
	v_sub_f16_e32 v23, v13, v23
	v_add_f16_e32 v15, v22, v15
	v_sub_f16_e32 v11, v5, v11
	v_sub_f16_e32 v27, v19, v27
	;; [unrolled: 1-line block ×3, first 2 shown]
	v_add_f16_e32 v16, v24, v16
	v_sub_f16_e32 v12, v6, v12
	v_sub_f16_e32 v28, v25, v28
	v_fma_f16 v13, v13, 2.0, -v23
	v_fma_f16 v22, v22, 2.0, -v15
	;; [unrolled: 1-line block ×6, first 2 shown]
	v_pack_b32_f16 v15, v23, v15
	v_fma_f16 v6, v6, 2.0, -v12
	v_fma_f16 v23, v25, 2.0, -v28
	v_pack_b32_f16 v11, v11, v27
	v_pack_b32_f16 v13, v13, v22
	;; [unrolled: 1-line block ×7, first 2 shown]
	ds_write2_b32 v49, v11, v15 offset0:8 offset1:12
	ds_write2_b32 v49, v5, v13 offset1:4
	ds_write2_b32 v48, v6, v14 offset1:4
	ds_write2_b32 v48, v12, v16 offset0:8 offset1:12
	s_waitcnt lgkmcnt(0)
	s_barrier
	buffer_gl0_inv
	global_load_dwordx3 v[11:13], v[17:18], off offset:48
	ds_read2_b32 v[5:6], v42 offset1:224
	ds_read2_b32 v[14:15], v2 offset1:224
	;; [unrolled: 1-line block ×4, first 2 shown]
	v_and_or_b32 v27, 0x7c0, v7, v21
	v_and_b32_e32 v25, 63, v43
	v_and_or_b32 v23, 0x3c0, v42, v21
	v_and_b32_e32 v26, 63, v1
	s_waitcnt vmcnt(0) lgkmcnt(0)
	v_lshlrev_b32_e32 v54, 2, v27
	v_mad_u64_u32 v[21:22], null, v25, 12, s[2:3]
	v_lshlrev_b32_e32 v53, 2, v23
	v_mad_u64_u32 v[23:24], null, v26, 12, s[2:3]
	s_barrier
	buffer_gl0_inv
	v_and_or_b32 v7, 0x700, v7, v26
	v_lshrrev_b32_e32 v27, 16, v5
	v_lshrrev_b32_e32 v28, 16, v14
	v_lshrrev_b32_e32 v29, 16, v16
	v_lshrrev_b32_e32 v30, 16, v18
	v_lshrrev_b32_e32 v32, 16, v15
	v_lshrrev_b32_e32 v33, 16, v17
	v_lshrrev_b32_e32 v34, 16, v19
	v_lshrrev_b32_e32 v31, 16, v6
	v_mul_f16_sdwa v35, v28, v11 dst_sel:DWORD dst_unused:UNUSED_PAD src0_sel:DWORD src1_sel:WORD_1
	v_mul_f16_sdwa v36, v14, v11 dst_sel:DWORD dst_unused:UNUSED_PAD src0_sel:DWORD src1_sel:WORD_1
	;; [unrolled: 1-line block ×12, first 2 shown]
	v_fma_f16 v14, v14, v11, -v35
	v_fmac_f16_e32 v36, v28, v11
	v_fmac_f16_e32 v52, v29, v12
	v_fma_f16 v16, v16, v12, -v51
	v_fma_f16 v18, v18, v13, -v56
	v_fmac_f16_e32 v57, v30, v13
	v_fma_f16 v15, v15, v11, -v55
	v_fmac_f16_e32 v58, v32, v11
	;; [unrolled: 2-line block ×4, first 2 shown]
	v_sub_f16_e32 v16, v5, v16
	v_sub_f16_e32 v28, v27, v52
	;; [unrolled: 1-line block ×8, first 2 shown]
	v_fma_f16 v5, v5, 2.0, -v16
	v_fma_f16 v27, v27, 2.0, -v28
	v_fma_f16 v14, v14, 2.0, -v18
	v_fma_f16 v33, v36, 2.0, -v29
	v_fma_f16 v6, v6, 2.0, -v17
	v_fma_f16 v31, v31, 2.0, -v30
	v_fma_f16 v15, v15, 2.0, -v19
	v_fma_f16 v34, v58, 2.0, -v32
	v_sub_f16_e32 v29, v16, v29
	v_add_f16_e32 v18, v28, v18
	v_sub_f16_e32 v14, v5, v14
	v_sub_f16_e32 v33, v27, v33
	;; [unrolled: 1-line block ×3, first 2 shown]
	v_add_f16_e32 v19, v30, v19
	v_sub_f16_e32 v15, v6, v15
	v_sub_f16_e32 v34, v31, v34
	v_fma_f16 v16, v16, 2.0, -v29
	v_fma_f16 v28, v28, 2.0, -v18
	;; [unrolled: 1-line block ×6, first 2 shown]
	v_pack_b32_f16 v18, v29, v18
	v_fma_f16 v6, v6, 2.0, -v15
	v_fma_f16 v29, v31, 2.0, -v34
	v_pack_b32_f16 v14, v14, v33
	v_pack_b32_f16 v16, v16, v28
	;; [unrolled: 1-line block ×7, first 2 shown]
	ds_write2_b32 v53, v14, v18 offset0:32 offset1:48
	ds_write2_b32 v53, v5, v16 offset1:16
	ds_write2_b32 v54, v6, v17 offset1:16
	ds_write2_b32 v54, v15, v19 offset0:32 offset1:48
	s_waitcnt lgkmcnt(0)
	s_barrier
	buffer_gl0_inv
	s_clause 0x1
	global_load_dwordx3 v[17:19], v[21:22], off offset:240
	global_load_dwordx3 v[14:16], v[23:24], off offset:240
	ds_read2_b32 v[5:6], v42 offset1:224
	ds_read2_b32 v[21:22], v2 offset1:224
	;; [unrolled: 1-line block ×4, first 2 shown]
	v_and_or_b32 v4, 0x300, v42, v25
	v_lshlrev_b32_e32 v51, 2, v7
	s_waitcnt vmcnt(0) lgkmcnt(0)
	s_barrier
	buffer_gl0_inv
	v_lshlrev_b32_e32 v52, 2, v4
                                        ; implicit-def: $vgpr61
                                        ; implicit-def: $vgpr62
	v_lshrrev_b32_e32 v4, 16, v5
	v_lshrrev_b32_e32 v7, 16, v21
	;; [unrolled: 1-line block ×8, first 2 shown]
	v_mul_f16_sdwa v31, v7, v17 dst_sel:DWORD dst_unused:UNUSED_PAD src0_sel:DWORD src1_sel:WORD_1
	v_mul_f16_sdwa v32, v21, v17 dst_sel:DWORD dst_unused:UNUSED_PAD src0_sel:DWORD src1_sel:WORD_1
	;; [unrolled: 1-line block ×12, first 2 shown]
	v_fmac_f16_e32 v32, v7, v17
	v_fmac_f16_e32 v34, v25, v18
	v_fma_f16 v7, v21, v17, -v31
	v_fma_f16 v2, v2, v18, -v33
	;; [unrolled: 1-line block ×3, first 2 shown]
	v_fmac_f16_e32 v36, v26, v19
	v_fma_f16 v22, v22, v14, -v55
	v_fmac_f16_e32 v56, v28, v14
	v_fma_f16 v3, v3, v15, -v57
	;; [unrolled: 2-line block ×3, first 2 shown]
	v_fmac_f16_e32 v60, v30, v16
	v_sub_f16_e32 v2, v5, v2
	v_sub_f16_e32 v24, v4, v34
	;; [unrolled: 1-line block ×8, first 2 shown]
	v_fma_f16 v5, v5, 2.0, -v2
	v_fma_f16 v4, v4, 2.0, -v24
	;; [unrolled: 1-line block ×8, first 2 shown]
	v_sub_f16_e32 v30, v2, v25
	v_add_f16_e32 v21, v24, v21
	v_add_f16_e32 v55, v26, v23
	v_sub_f16_e32 v7, v5, v7
	v_sub_f16_e32 v23, v4, v29
	;; [unrolled: 1-line block ×5, first 2 shown]
	v_fma_f16 v2, v2, 2.0, -v30
	v_fma_f16 v24, v24, 2.0, -v21
	;; [unrolled: 1-line block ×8, first 2 shown]
	v_pack_b32_f16 v21, v30, v21
	v_pack_b32_f16 v7, v7, v23
	;; [unrolled: 1-line block ×8, first 2 shown]
	ds_write2st64_b32 v52, v7, v21 offset0:2 offset1:3
	ds_write2st64_b32 v52, v4, v2 offset1:1
	ds_write2st64_b32 v51, v5, v3 offset1:1
	ds_write2st64_b32 v51, v6, v29 offset0:2 offset1:3
	s_waitcnt lgkmcnt(0)
	s_barrier
	buffer_gl0_inv
	ds_read2st64_b32 v[27:28], v42 offset1:4
	ds_read2st64_b32 v[35:36], v42 offset0:8 offset1:12
	ds_read2st64_b32 v[33:34], v42 offset0:16 offset1:20
	ds_read_b32 v56, v42 offset:6144
                                        ; implicit-def: $vgpr30
                                        ; implicit-def: $vgpr58
                                        ; implicit-def: $vgpr32
                                        ; implicit-def: $vgpr59
                                        ; implicit-def: $vgpr57
                                        ; implicit-def: $vgpr60
	s_and_saveexec_b32 s6, vcc_lo
	s_cbranch_execz .LBB0_3
; %bb.2:
	v_add_nc_u32_e32 v0, 0x80, v42
	ds_read2st64_b32 v[25:26], v0 offset0:3 offset1:7
	ds_read2st64_b32 v[29:30], v0 offset0:11 offset1:15
	;; [unrolled: 1-line block ×3, first 2 shown]
	ds_read_b32 v57, v42 offset:7040
	s_waitcnt lgkmcnt(3)
	v_lshrrev_b32_e32 v55, 16, v25
	v_lshrrev_b32_e32 v63, 16, v26
	s_waitcnt lgkmcnt(2)
	v_lshrrev_b32_e32 v62, 16, v29
	v_lshrrev_b32_e32 v58, 16, v30
	;; [unrolled: 3-line block ×3, first 2 shown]
	s_waitcnt lgkmcnt(0)
	v_lshrrev_b32_e32 v60, 16, v57
.LBB0_3:
	s_or_b32 exec_lo, exec_lo, s6
	v_mad_u64_u32 v[2:3], null, v43, 24, s[2:3]
	v_and_b32_e32 v0, 0xff, v1
	s_waitcnt lgkmcnt(3)
	v_lshrrev_b32_e32 v64, 16, v28
	s_waitcnt lgkmcnt(2)
	v_lshrrev_b32_e32 v65, 16, v35
	v_lshrrev_b32_e32 v66, 16, v36
	s_waitcnt lgkmcnt(1)
	v_lshrrev_b32_e32 v67, 16, v33
	v_mad_u64_u32 v[21:22], null, v0, 24, s[2:3]
	s_clause 0x1
	global_load_dwordx4 v[4:7], v[2:3], off offset:1008
	global_load_dwordx2 v[23:24], v[2:3], off offset:1024
	v_lshrrev_b32_e32 v68, 16, v34
	s_waitcnt lgkmcnt(0)
	v_lshrrev_b32_e32 v69, 16, v56
	s_clause 0x1
	global_load_dwordx4 v[0:3], v[21:22], off offset:1008
	global_load_dwordx2 v[21:22], v[21:22], off offset:1024
	s_waitcnt vmcnt(3)
	v_mul_f16_sdwa v70, v64, v4 dst_sel:DWORD dst_unused:UNUSED_PAD src0_sel:DWORD src1_sel:WORD_1
	v_mul_f16_sdwa v71, v28, v4 dst_sel:DWORD dst_unused:UNUSED_PAD src0_sel:DWORD src1_sel:WORD_1
	;; [unrolled: 1-line block ×8, first 2 shown]
	s_waitcnt vmcnt(2)
	v_mul_f16_sdwa v78, v68, v23 dst_sel:DWORD dst_unused:UNUSED_PAD src0_sel:DWORD src1_sel:WORD_1
	v_mul_f16_sdwa v79, v34, v23 dst_sel:DWORD dst_unused:UNUSED_PAD src0_sel:DWORD src1_sel:WORD_1
	;; [unrolled: 1-line block ×4, first 2 shown]
	v_fma_f16 v28, v28, v4, -v70
	v_fmac_f16_e32 v71, v64, v4
	v_fma_f16 v35, v35, v5, -v72
	v_fmac_f16_e32 v73, v65, v5
	;; [unrolled: 2-line block ×6, first 2 shown]
	s_waitcnt vmcnt(1)
	v_mul_f16_sdwa v64, v63, v0 dst_sel:DWORD dst_unused:UNUSED_PAD src0_sel:DWORD src1_sel:WORD_1
	v_mul_f16_sdwa v65, v26, v0 dst_sel:DWORD dst_unused:UNUSED_PAD src0_sel:DWORD src1_sel:WORD_1
	;; [unrolled: 1-line block ×6, first 2 shown]
	s_waitcnt vmcnt(0)
	v_mul_f16_sdwa v74, v59, v21 dst_sel:DWORD dst_unused:UNUSED_PAD src0_sel:DWORD src1_sel:WORD_1
	v_mul_f16_sdwa v76, v32, v21 dst_sel:DWORD dst_unused:UNUSED_PAD src0_sel:DWORD src1_sel:WORD_1
	;; [unrolled: 1-line block ×6, first 2 shown]
	v_fma_f16 v26, v26, v0, -v64
	v_fmac_f16_e32 v65, v63, v0
	v_fma_f16 v29, v29, v1, -v66
	v_fmac_f16_e32 v67, v62, v1
	v_fmac_f16_e32 v69, v58, v2
	;; [unrolled: 1-line block ×3, first 2 shown]
	v_fma_f16 v32, v32, v21, -v74
	v_fmac_f16_e32 v76, v59, v21
	v_fma_f16 v57, v57, v22, -v78
	v_fmac_f16_e32 v80, v60, v22
	v_add_f16_e32 v58, v28, v56
	v_add_f16_e32 v59, v71, v81
	v_sub_f16_e32 v28, v28, v56
	v_sub_f16_e32 v56, v71, v81
	v_add_f16_e32 v60, v35, v34
	v_add_f16_e32 v61, v73, v79
	v_sub_f16_e32 v34, v35, v34
	v_sub_f16_e32 v35, v73, v79
	;; [unrolled: 4-line block ×3, first 2 shown]
	v_fma_f16 v30, v30, v2, -v68
	v_fma_f16 v31, v31, v3, -v70
	v_add_f16_e32 v64, v60, v58
	v_add_f16_e32 v66, v61, v59
	v_sub_f16_e32 v68, v60, v58
	v_sub_f16_e32 v70, v61, v59
	;; [unrolled: 1-line block ×6, first 2 shown]
	v_add_f16_e32 v71, v33, v34
	v_add_f16_e32 v73, v36, v35
	v_sub_f16_e32 v74, v33, v34
	v_sub_f16_e32 v75, v36, v35
	;; [unrolled: 1-line block ×3, first 2 shown]
	v_add_f16_e32 v77, v26, v57
	v_add_f16_e32 v78, v65, v80
	v_sub_f16_e32 v26, v26, v57
	v_sub_f16_e32 v57, v65, v80
	v_add_f16_e32 v65, v29, v32
	v_add_f16_e32 v79, v67, v76
	v_sub_f16_e32 v33, v28, v33
	v_sub_f16_e32 v36, v56, v36
	v_sub_f16_e32 v34, v34, v28
	v_sub_f16_e32 v29, v29, v32
	v_sub_f16_e32 v32, v67, v76
	v_add_f16_e32 v67, v30, v31
	v_add_f16_e32 v76, v69, v72
	v_sub_f16_e32 v30, v31, v30
	v_sub_f16_e32 v31, v72, v69
	v_add_f16_e32 v62, v62, v64
	v_add_f16_e32 v63, v63, v66
	;; [unrolled: 1-line block ×4, first 2 shown]
	v_mul_f16_e32 v58, 0x3a52, v58
	v_mul_f16_e32 v59, 0x3a52, v59
	;; [unrolled: 1-line block ×7, first 2 shown]
	v_add_f16_e32 v74, v65, v77
	v_add_f16_e32 v75, v79, v78
	v_mul_f16_e32 v72, 0x3b00, v34
	v_sub_f16_e32 v80, v65, v77
	v_sub_f16_e32 v81, v79, v78
	;; [unrolled: 1-line block ×6, first 2 shown]
	v_add_f16_e32 v82, v30, v29
	v_add_f16_e32 v83, v31, v32
	v_sub_f16_e32 v84, v30, v29
	v_sub_f16_e32 v85, v31, v32
	;; [unrolled: 1-line block ×4, first 2 shown]
	v_add_f16_e32 v86, v27, v62
	v_add_f16_sdwa v27, v27, v63 dst_sel:DWORD dst_unused:UNUSED_PAD src0_sel:WORD_1 src1_sel:DWORD
	v_fmamk_f16 v60, v60, 0x2b26, v58
	v_fmamk_f16 v61, v61, 0x2b26, v59
	v_fma_f16 v64, v68, 0x39e0, -v64
	v_fma_f16 v66, v70, 0x39e0, -v66
	;; [unrolled: 1-line block ×4, first 2 shown]
	v_fmamk_f16 v68, v33, 0x3574, v69
	v_fmamk_f16 v70, v36, 0x3574, v71
	v_fma_f16 v34, v34, 0x3b00, -v69
	v_fma_f16 v35, v35, 0x3b00, -v71
	;; [unrolled: 1-line block ×3, first 2 shown]
	v_add_f16_e32 v67, v67, v74
	v_add_f16_e32 v69, v76, v75
	v_sub_f16_e32 v30, v26, v30
	v_sub_f16_e32 v31, v57, v31
	v_fma_f16 v33, v33, 0xb574, -v72
	v_mul_f16_e32 v71, 0x3a52, v77
	v_mul_f16_e32 v72, 0x3a52, v78
	v_mul_f16_e32 v73, 0x2b26, v65
	v_mul_f16_e32 v74, 0x2b26, v79
	v_mul_f16_e32 v75, 0xb846, v84
	v_mul_f16_e32 v76, 0xb846, v85
	v_mul_f16_e32 v77, 0x3b00, v29
	v_mul_f16_e32 v78, 0x3b00, v32
	v_fmamk_f16 v62, v62, 0xbcab, v86
	v_fmamk_f16 v63, v63, 0xbcab, v27
	v_fmac_f16_e32 v70, 0x370e, v56
	v_fmac_f16_e32 v35, 0x370e, v56
	;; [unrolled: 1-line block ×3, first 2 shown]
	v_add_f16_e32 v25, v25, v67
	v_add_f16_e32 v56, v55, v69
	;; [unrolled: 1-line block ×4, first 2 shown]
	v_fmac_f16_e32 v68, 0x370e, v28
	v_fmac_f16_e32 v34, 0x370e, v28
	;; [unrolled: 1-line block ×3, first 2 shown]
	v_fmamk_f16 v28, v65, 0x2b26, v71
	v_fmamk_f16 v55, v79, 0x2b26, v72
	v_fma_f16 v65, v80, 0x39e0, -v73
	v_fma_f16 v73, v81, 0x39e0, -v74
	;; [unrolled: 1-line block ×4, first 2 shown]
	v_fmamk_f16 v74, v30, 0x3574, v75
	v_fmamk_f16 v79, v31, 0x3574, v76
	v_fma_f16 v75, v29, 0x3b00, -v75
	v_fma_f16 v29, v32, 0x3b00, -v76
	;; [unrolled: 1-line block ×4, first 2 shown]
	v_pack_b32_f16 v77, v86, v27
	v_add_f16_e32 v27, v60, v62
	v_add_f16_e32 v31, v61, v63
	;; [unrolled: 1-line block ×5, first 2 shown]
	v_fmamk_f16 v61, v67, 0xbcab, v25
	v_fmamk_f16 v62, v69, 0xbcab, v56
	v_add_f16_e32 v59, v59, v63
	v_fmac_f16_e32 v74, 0x370e, v26
	v_fmac_f16_e32 v79, 0x370e, v57
	;; [unrolled: 1-line block ×6, first 2 shown]
	v_add_f16_e32 v57, v70, v27
	v_sub_f16_e32 v63, v31, v68
	v_add_f16_e32 v64, v36, v58
	v_sub_f16_e32 v67, v32, v35
	v_add_f16_e32 v69, v34, v60
	v_add_f16_e32 v78, v35, v32
	v_sub_f16_e32 v60, v60, v34
	v_sub_f16_e32 v58, v58, v36
	v_add_f16_e32 v36, v28, v61
	v_add_f16_e32 v55, v55, v62
	;; [unrolled: 1-line block ×6, first 2 shown]
	v_sub_f16_e32 v66, v59, v33
	v_add_f16_e32 v59, v33, v59
	v_sub_f16_e32 v70, v27, v70
	v_add_f16_e32 v68, v68, v31
	v_add_f16_e32 v26, v79, v36
	v_sub_f16_e32 v33, v55, v74
	v_add_f16_e32 v27, v30, v35
	v_sub_f16_e32 v32, v61, v76
	v_sub_f16_e32 v28, v34, v29
	v_add_f16_e32 v31, v75, v62
	v_add_f16_e32 v29, v29, v34
	v_sub_f16_e32 v34, v62, v75
	v_sub_f16_e32 v30, v35, v30
	v_add_f16_e32 v35, v76, v61
	v_sub_f16_e32 v36, v36, v79
	v_pack_b32_f16 v57, v57, v63
	v_add_f16_e32 v55, v74, v55
	v_pack_b32_f16 v61, v64, v66
	v_pack_b32_f16 v62, v67, v69
	;; [unrolled: 1-line block ×5, first 2 shown]
	ds_write2st64_b32 v42, v77, v57 offset1:4
	ds_write2st64_b32 v42, v61, v62 offset0:8 offset1:12
	ds_write2st64_b32 v42, v60, v58 offset0:16 offset1:20
	ds_write_b32 v42, v59 offset:6144
	s_and_saveexec_b32 s2, vcc_lo
	s_cbranch_execz .LBB0_5
; %bb.4:
	v_perm_b32 v25, v56, v25, 0x5040100
	v_perm_b32 v56, v33, v26, 0x5040100
	v_add_nc_u32_e32 v57, 0x80, v42
	v_perm_b32 v58, v32, v27, 0x5040100
	v_perm_b32 v59, v31, v28, 0x5040100
	;; [unrolled: 1-line block ×5, first 2 shown]
	ds_write2st64_b32 v57, v25, v56 offset0:3 offset1:7
	ds_write2st64_b32 v57, v58, v59 offset0:11 offset1:15
	;; [unrolled: 1-line block ×3, first 2 shown]
	ds_write_b32 v42, v62 offset:7040
.LBB0_5:
	s_or_b32 exec_lo, exec_lo, s2
	v_lshlrev_b32_e32 v25, 2, v43
	s_waitcnt lgkmcnt(0)
	s_barrier
	buffer_gl0_inv
	v_add_nc_u32_e32 v70, 0x700, v42
	v_add_co_u32 v25, s0, s0, v25
	v_add_co_ci_u32_e64 v62, null, s1, 0, s0
	v_add_nc_u32_e32 v72, 0x1500, v42
	v_add_co_u32 v56, s0, 0x1800, v25
	v_add_co_ci_u32_e64 v57, s0, 0, v62, s0
	v_add_nc_u32_e32 v71, 0xe00, v42
	global_load_dword v63, v[56:57], off offset:1024
	v_add_co_u32 v56, s0, 0x1c00, v25
	v_add_co_ci_u32_e64 v57, s0, 0, v62, s0
	v_add_co_u32 v58, s0, 0x2800, v25
	v_add_co_ci_u32_e64 v59, s0, 0, v62, s0
	global_load_dword v64, v[56:57], off offset:896
	v_add_co_u32 v60, s0, 0x3000, v25
	v_add_co_ci_u32_e64 v61, s0, 0, v62, s0
	s_clause 0x3
	global_load_dword v65, v[58:59], off offset:512
	global_load_dword v66, v[60:61], off offset:1152
	;; [unrolled: 1-line block ×4, first 2 shown]
	v_add_co_u32 v56, s0, 0x2000, v25
	v_add_co_ci_u32_e64 v57, s0, 0, v62, s0
	s_clause 0x1
	global_load_dword v25, v[60:61], off offset:256
	global_load_dword v69, v[56:57], off offset:1664
	ds_read2_b32 v[56:57], v42 offset1:224
	s_waitcnt lgkmcnt(0)
	v_lshrrev_b32_e32 v58, 16, v56
	s_waitcnt vmcnt(7)
	v_mul_f16_sdwa v59, v58, v63 dst_sel:DWORD dst_unused:UNUSED_PAD src0_sel:DWORD src1_sel:WORD_1
	v_mul_f16_sdwa v60, v56, v63 dst_sel:DWORD dst_unused:UNUSED_PAD src0_sel:DWORD src1_sel:WORD_1
	v_fma_f16 v56, v56, v63, -v59
	v_fmac_f16_e32 v60, v58, v63
	s_waitcnt vmcnt(6)
	v_mul_f16_sdwa v74, v57, v64 dst_sel:DWORD dst_unused:UNUSED_PAD src0_sel:DWORD src1_sel:WORD_1
	v_pack_b32_f16 v56, v56, v60
	ds_write_b32 v42, v56
	ds_read2_b32 v[58:59], v70 offset1:224
	ds_read2_b32 v[60:61], v71 offset1:224
	;; [unrolled: 1-line block ×3, first 2 shown]
	v_lshrrev_b32_e32 v56, 16, v57
	v_mul_f16_sdwa v73, v56, v64 dst_sel:DWORD dst_unused:UNUSED_PAD src0_sel:DWORD src1_sel:WORD_1
	v_fmac_f16_e32 v74, v56, v64
	v_add_nc_u32_e32 v56, 0x380, v42
	v_fma_f16 v57, v57, v64, -v73
	v_add_nc_u32_e32 v64, 0xa80, v42
	v_add_nc_u32_e32 v73, 0x1180, v42
	v_pack_b32_f16 v57, v57, v74
	s_waitcnt lgkmcnt(2)
	v_lshrrev_b32_e32 v74, 16, v58
	s_waitcnt vmcnt(2)
	v_mul_f16_sdwa v75, v58, v68 dst_sel:DWORD dst_unused:UNUSED_PAD src0_sel:DWORD src1_sel:WORD_1
	s_waitcnt lgkmcnt(1)
	v_lshrrev_b32_e32 v76, 16, v60
	v_mul_f16_sdwa v77, v60, v65 dst_sel:DWORD dst_unused:UNUSED_PAD src0_sel:DWORD src1_sel:WORD_1
	s_waitcnt lgkmcnt(0)
	v_lshrrev_b32_e32 v78, 16, v62
	s_waitcnt vmcnt(1)
	v_mul_f16_sdwa v79, v62, v25 dst_sel:DWORD dst_unused:UNUSED_PAD src0_sel:DWORD src1_sel:WORD_1
	v_lshrrev_b32_e32 v80, 16, v59
	s_waitcnt vmcnt(0)
	v_mul_f16_sdwa v81, v59, v69 dst_sel:DWORD dst_unused:UNUSED_PAD src0_sel:DWORD src1_sel:WORD_1
	v_lshrrev_b32_e32 v82, 16, v61
	v_mul_f16_sdwa v83, v61, v67 dst_sel:DWORD dst_unused:UNUSED_PAD src0_sel:DWORD src1_sel:WORD_1
	v_lshrrev_b32_e32 v84, 16, v63
	v_mul_f16_sdwa v86, v74, v68 dst_sel:DWORD dst_unused:UNUSED_PAD src0_sel:DWORD src1_sel:WORD_1
	v_fmac_f16_e32 v75, v74, v68
	v_mul_f16_sdwa v74, v76, v65 dst_sel:DWORD dst_unused:UNUSED_PAD src0_sel:DWORD src1_sel:WORD_1
	v_fmac_f16_e32 v77, v76, v65
	;; [unrolled: 2-line block ×4, first 2 shown]
	v_mul_f16_sdwa v80, v82, v67 dst_sel:DWORD dst_unused:UNUSED_PAD src0_sel:DWORD src1_sel:WORD_1
	v_mul_f16_sdwa v85, v63, v66 dst_sel:DWORD dst_unused:UNUSED_PAD src0_sel:DWORD src1_sel:WORD_1
	v_fmac_f16_e32 v83, v82, v67
	v_mul_f16_sdwa v82, v84, v66 dst_sel:DWORD dst_unused:UNUSED_PAD src0_sel:DWORD src1_sel:WORD_1
	v_fma_f16 v58, v58, v68, -v86
	v_fma_f16 v60, v60, v65, -v74
	;; [unrolled: 1-line block ×5, first 2 shown]
	v_fmac_f16_e32 v85, v84, v66
	v_fma_f16 v62, v63, v66, -v82
	v_pack_b32_f16 v58, v58, v75
	v_pack_b32_f16 v60, v60, v77
	;; [unrolled: 1-line block ×6, first 2 shown]
	ds_write2_b32 v56, v57, v58 offset1:224
	ds_write2_b32 v64, v59, v60 offset1:224
	;; [unrolled: 1-line block ×3, first 2 shown]
	ds_write_b32 v42, v62 offset:6272
	s_waitcnt lgkmcnt(0)
	s_barrier
	buffer_gl0_inv
	ds_read2_b32 v[56:57], v42 offset1:224
	ds_read2_b32 v[58:59], v70 offset1:224
	;; [unrolled: 1-line block ×4, first 2 shown]
	s_waitcnt lgkmcnt(0)
	s_barrier
	buffer_gl0_inv
	v_pk_add_f16 v25, v56, v60 neg_lo:[0,1] neg_hi:[0,1]
	v_pk_add_f16 v61, v57, v61 neg_lo:[0,1] neg_hi:[0,1]
	;; [unrolled: 1-line block ×4, first 2 shown]
	v_lshrrev_b32_e32 v64, 16, v25
	v_lshrrev_b32_e32 v65, 16, v61
	v_pk_fma_f16 v56, v56, 2.0, v25 op_sel_hi:[1,0,1] neg_lo:[0,0,1] neg_hi:[0,0,1]
	v_pk_fma_f16 v58, v58, 2.0, v60 op_sel_hi:[1,0,1] neg_lo:[0,0,1] neg_hi:[0,0,1]
	v_add_f16_sdwa v63, v25, v60 dst_sel:DWORD dst_unused:UNUSED_PAD src0_sel:DWORD src1_sel:WORD_1
	v_pk_fma_f16 v57, v57, 2.0, v61 op_sel_hi:[1,0,1] neg_lo:[0,0,1] neg_hi:[0,0,1]
	v_pk_fma_f16 v59, v59, 2.0, v62 op_sel_hi:[1,0,1] neg_lo:[0,0,1] neg_hi:[0,0,1]
	v_sub_f16_e32 v67, v64, v60
	v_add_f16_sdwa v66, v61, v62 dst_sel:DWORD dst_unused:UNUSED_PAD src0_sel:DWORD src1_sel:WORD_1
	v_sub_f16_e32 v68, v65, v62
	v_pk_add_f16 v58, v56, v58 neg_lo:[0,1] neg_hi:[0,1]
	v_fma_f16 v25, v25, 2.0, -v63
	v_pk_add_f16 v62, v57, v59 neg_lo:[0,1] neg_hi:[0,1]
	v_fma_f16 v64, v64, 2.0, -v67
	v_fma_f16 v61, v61, 2.0, -v66
	;; [unrolled: 1-line block ×3, first 2 shown]
	v_pk_fma_f16 v56, v56, 2.0, v58 op_sel_hi:[1,0,1] neg_lo:[0,0,1] neg_hi:[0,0,1]
	v_pk_fma_f16 v60, v57, 2.0, v62 op_sel_hi:[1,0,1] neg_lo:[0,0,1] neg_hi:[0,0,1]
	v_pack_b32_f16 v59, v63, v67
	v_pack_b32_f16 v57, v25, v64
	;; [unrolled: 1-line block ×4, first 2 shown]
	ds_write_b128 v47, v[56:59]
	ds_write_b128 v50, v[60:63]
	s_waitcnt lgkmcnt(0)
	s_barrier
	buffer_gl0_inv
	ds_read2_b32 v[56:57], v42 offset1:224
	ds_read2_b32 v[58:59], v70 offset1:224
	;; [unrolled: 1-line block ×4, first 2 shown]
	s_waitcnt lgkmcnt(0)
	s_barrier
	buffer_gl0_inv
	v_lshrrev_b32_e32 v25, 16, v56
	v_lshrrev_b32_e32 v47, 16, v58
	;; [unrolled: 1-line block ×4, first 2 shown]
	v_mul_f16_sdwa v69, v8, v58 dst_sel:DWORD dst_unused:UNUSED_PAD src0_sel:WORD_1 src1_sel:DWORD
	v_mul_f16_sdwa v73, v9, v60 dst_sel:DWORD dst_unused:UNUSED_PAD src0_sel:WORD_1 src1_sel:DWORD
	v_lshrrev_b32_e32 v66, 16, v59
	v_lshrrev_b32_e32 v67, 16, v61
	;; [unrolled: 1-line block ×3, first 2 shown]
	v_mul_f16_sdwa v74, v10, v62 dst_sel:DWORD dst_unused:UNUSED_PAD src0_sel:WORD_1 src1_sel:DWORD
	v_mul_f16_sdwa v75, v8, v59 dst_sel:DWORD dst_unused:UNUSED_PAD src0_sel:WORD_1 src1_sel:DWORD
	;; [unrolled: 1-line block ×4, first 2 shown]
	v_fma_f16 v47, v8, v47, -v69
	v_mul_f16_sdwa v69, v9, v50 dst_sel:DWORD dst_unused:UNUSED_PAD src0_sel:WORD_1 src1_sel:DWORD
	v_fma_f16 v50, v9, v50, -v73
	v_mul_f16_sdwa v73, v10, v64 dst_sel:DWORD dst_unused:UNUSED_PAD src0_sel:WORD_1 src1_sel:DWORD
	v_mul_f16_sdwa v77, v10, v63 dst_sel:DWORD dst_unused:UNUSED_PAD src0_sel:WORD_1 src1_sel:DWORD
	v_fma_f16 v64, v10, v64, -v74
	v_mul_f16_sdwa v74, v8, v66 dst_sel:DWORD dst_unused:UNUSED_PAD src0_sel:WORD_1 src1_sel:DWORD
	v_fma_f16 v66, v8, v66, -v75
	;; [unrolled: 2-line block ×3, first 2 shown]
	v_mul_f16_sdwa v76, v10, v68 dst_sel:DWORD dst_unused:UNUSED_PAD src0_sel:WORD_1 src1_sel:DWORD
	v_fmac_f16_e32 v78, v8, v58
	v_fmac_f16_e32 v69, v9, v60
	;; [unrolled: 1-line block ×3, first 2 shown]
	v_lshrrev_b32_e32 v65, 16, v57
	v_fma_f16 v68, v10, v68, -v77
	v_fmac_f16_e32 v74, v8, v59
	v_fmac_f16_e32 v75, v9, v61
	;; [unrolled: 1-line block ×3, first 2 shown]
	v_sub_f16_e32 v8, v25, v50
	v_sub_f16_e32 v9, v47, v64
	;; [unrolled: 1-line block ×8, first 2 shown]
	v_fma_f16 v25, v25, 2.0, -v8
	v_fma_f16 v47, v47, 2.0, -v9
	v_fma_f16 v56, v56, 2.0, -v58
	v_fma_f16 v64, v78, 2.0, -v59
	v_fma_f16 v61, v65, 2.0, -v10
	v_fma_f16 v63, v66, 2.0, -v50
	v_fma_f16 v57, v57, 2.0, -v60
	v_fma_f16 v65, v74, 2.0, -v62
	v_sub_f16_e32 v47, v25, v47
	v_add_f16_e32 v9, v58, v9
	v_sub_f16_e32 v59, v8, v59
	v_sub_f16_e32 v64, v56, v64
	;; [unrolled: 1-line block ×3, first 2 shown]
	v_add_f16_e32 v50, v60, v50
	v_sub_f16_e32 v62, v10, v62
	v_sub_f16_e32 v65, v57, v65
	v_fma_f16 v25, v25, 2.0, -v47
	v_fma_f16 v58, v58, 2.0, -v9
	;; [unrolled: 1-line block ×8, first 2 shown]
	v_pack_b32_f16 v9, v9, v59
	v_pack_b32_f16 v47, v64, v47
	;; [unrolled: 1-line block ×8, first 2 shown]
	ds_write2_b32 v49, v47, v9 offset0:8 offset1:12
	ds_write2_b32 v49, v25, v8 offset1:4
	ds_write2_b32 v48, v56, v10 offset1:4
	ds_write2_b32 v48, v57, v50 offset0:8 offset1:12
	s_waitcnt lgkmcnt(0)
	s_barrier
	buffer_gl0_inv
	ds_read2_b32 v[8:9], v42 offset1:224
	ds_read2_b32 v[47:48], v70 offset1:224
	;; [unrolled: 1-line block ×4, first 2 shown]
	s_waitcnt lgkmcnt(0)
	s_barrier
	buffer_gl0_inv
	v_lshrrev_b32_e32 v10, 16, v8
	v_lshrrev_b32_e32 v25, 16, v47
	;; [unrolled: 1-line block ×4, first 2 shown]
	v_mul_f16_sdwa v64, v11, v47 dst_sel:DWORD dst_unused:UNUSED_PAD src0_sel:WORD_1 src1_sel:DWORD
	v_mul_f16_sdwa v65, v12, v49 dst_sel:DWORD dst_unused:UNUSED_PAD src0_sel:WORD_1 src1_sel:DWORD
	v_lshrrev_b32_e32 v61, 16, v48
	v_lshrrev_b32_e32 v62, 16, v50
	;; [unrolled: 1-line block ×3, first 2 shown]
	v_mul_f16_sdwa v66, v13, v56 dst_sel:DWORD dst_unused:UNUSED_PAD src0_sel:WORD_1 src1_sel:DWORD
	v_mul_f16_sdwa v67, v11, v48 dst_sel:DWORD dst_unused:UNUSED_PAD src0_sel:WORD_1 src1_sel:DWORD
	;; [unrolled: 1-line block ×4, first 2 shown]
	v_fma_f16 v25, v11, v25, -v64
	v_mul_f16_sdwa v64, v12, v58 dst_sel:DWORD dst_unused:UNUSED_PAD src0_sel:WORD_1 src1_sel:DWORD
	v_fma_f16 v58, v12, v58, -v65
	v_mul_f16_sdwa v65, v13, v59 dst_sel:DWORD dst_unused:UNUSED_PAD src0_sel:WORD_1 src1_sel:DWORD
	v_mul_f16_sdwa v69, v13, v57 dst_sel:DWORD dst_unused:UNUSED_PAD src0_sel:WORD_1 src1_sel:DWORD
	v_fma_f16 v59, v13, v59, -v66
	v_mul_f16_sdwa v66, v11, v61 dst_sel:DWORD dst_unused:UNUSED_PAD src0_sel:WORD_1 src1_sel:DWORD
	v_fma_f16 v61, v11, v61, -v67
	v_mul_f16_sdwa v67, v12, v62 dst_sel:DWORD dst_unused:UNUSED_PAD src0_sel:WORD_1 src1_sel:DWORD
	v_fma_f16 v62, v12, v62, -v68
	v_mul_f16_sdwa v68, v13, v63 dst_sel:DWORD dst_unused:UNUSED_PAD src0_sel:WORD_1 src1_sel:DWORD
	v_fmac_f16_e32 v73, v11, v47
	v_fmac_f16_e32 v64, v12, v49
	;; [unrolled: 1-line block ×3, first 2 shown]
	v_lshrrev_b32_e32 v60, 16, v9
	v_fma_f16 v63, v13, v63, -v69
	v_fmac_f16_e32 v66, v11, v48
	v_fmac_f16_e32 v67, v12, v50
	v_fmac_f16_e32 v68, v13, v57
	v_sub_f16_e32 v11, v10, v58
	v_sub_f16_e32 v12, v25, v59
	;; [unrolled: 1-line block ×8, first 2 shown]
	v_fma_f16 v10, v10, 2.0, -v11
	v_fma_f16 v25, v25, 2.0, -v12
	v_fma_f16 v8, v8, 2.0, -v48
	v_fma_f16 v59, v73, 2.0, -v49
	v_fma_f16 v56, v60, 2.0, -v13
	v_fma_f16 v58, v61, 2.0, -v47
	v_fma_f16 v9, v9, 2.0, -v50
	v_fma_f16 v60, v66, 2.0, -v57
	v_sub_f16_e32 v25, v10, v25
	v_add_f16_e32 v12, v48, v12
	v_sub_f16_e32 v49, v11, v49
	v_sub_f16_e32 v59, v8, v59
	;; [unrolled: 1-line block ×3, first 2 shown]
	v_add_f16_e32 v47, v50, v47
	v_sub_f16_e32 v57, v13, v57
	v_sub_f16_e32 v60, v9, v60
	v_fma_f16 v10, v10, 2.0, -v25
	v_fma_f16 v48, v48, 2.0, -v12
	v_fma_f16 v11, v11, 2.0, -v49
	v_fma_f16 v8, v8, 2.0, -v59
	v_fma_f16 v56, v56, 2.0, -v58
	v_fma_f16 v50, v50, 2.0, -v47
	v_fma_f16 v13, v13, 2.0, -v57
	v_fma_f16 v9, v9, 2.0, -v60
	v_pack_b32_f16 v12, v12, v49
	v_pack_b32_f16 v25, v59, v25
	;; [unrolled: 1-line block ×8, first 2 shown]
	ds_write2_b32 v53, v25, v12 offset0:32 offset1:48
	ds_write2_b32 v53, v8, v11 offset1:16
	ds_write2_b32 v54, v9, v13 offset1:16
	ds_write2_b32 v54, v10, v47 offset0:32 offset1:48
	s_waitcnt lgkmcnt(0)
	s_barrier
	buffer_gl0_inv
	ds_read2_b32 v[8:9], v42 offset1:224
	ds_read2_b32 v[10:11], v70 offset1:224
	;; [unrolled: 1-line block ×4, first 2 shown]
	s_waitcnt lgkmcnt(0)
	s_barrier
	buffer_gl0_inv
	v_lshrrev_b32_e32 v25, 16, v8
	v_lshrrev_b32_e32 v49, 16, v10
	;; [unrolled: 1-line block ×4, first 2 shown]
	v_mul_f16_sdwa v59, v17, v10 dst_sel:DWORD dst_unused:UNUSED_PAD src0_sel:WORD_1 src1_sel:DWORD
	v_mul_f16_sdwa v60, v18, v12 dst_sel:DWORD dst_unused:UNUSED_PAD src0_sel:WORD_1 src1_sel:DWORD
	v_lshrrev_b32_e32 v56, 16, v11
	v_lshrrev_b32_e32 v57, 16, v13
	;; [unrolled: 1-line block ×3, first 2 shown]
	v_mul_f16_sdwa v61, v19, v47 dst_sel:DWORD dst_unused:UNUSED_PAD src0_sel:WORD_1 src1_sel:DWORD
	v_mul_f16_sdwa v62, v14, v11 dst_sel:DWORD dst_unused:UNUSED_PAD src0_sel:WORD_1 src1_sel:DWORD
	;; [unrolled: 1-line block ×5, first 2 shown]
	v_fma_f16 v49, v17, v49, -v59
	v_mul_f16_sdwa v59, v18, v50 dst_sel:DWORD dst_unused:UNUSED_PAD src0_sel:WORD_1 src1_sel:DWORD
	v_fma_f16 v50, v18, v50, -v60
	v_mul_f16_sdwa v60, v19, v53 dst_sel:DWORD dst_unused:UNUSED_PAD src0_sel:WORD_1 src1_sel:DWORD
	;; [unrolled: 2-line block ×5, first 2 shown]
	v_lshrrev_b32_e32 v54, 16, v9
	v_fma_f16 v58, v16, v58, -v64
	v_fmac_f16_e32 v65, v17, v10
	v_fmac_f16_e32 v59, v18, v12
	;; [unrolled: 1-line block ×6, first 2 shown]
	v_sub_f16_e32 v10, v25, v50
	v_sub_f16_e32 v11, v49, v53
	;; [unrolled: 1-line block ×8, first 2 shown]
	v_fma_f16 v16, v25, 2.0, -v10
	v_fma_f16 v17, v49, 2.0, -v11
	;; [unrolled: 1-line block ×8, first 2 shown]
	v_sub_f16_e32 v17, v16, v17
	v_add_f16_e32 v11, v15, v11
	v_sub_f16_e32 v49, v10, v14
	v_sub_f16_e32 v53, v19, v25
	v_add_f16_e32 v25, v18, v13
	v_sub_f16_e32 v13, v8, v48
	v_sub_f16_e32 v14, v12, v47
	;; [unrolled: 1-line block ×3, first 2 shown]
	v_fma_f16 v16, v16, 2.0, -v17
	v_fma_f16 v15, v15, 2.0, -v11
	;; [unrolled: 1-line block ×8, first 2 shown]
	v_pack_b32_f16 v11, v11, v49
	v_pack_b32_f16 v13, v13, v17
	;; [unrolled: 1-line block ×8, first 2 shown]
	ds_write2st64_b32 v52, v13, v11 offset0:2 offset1:3
	ds_write2st64_b32 v52, v8, v10 offset1:1
	ds_write2st64_b32 v51, v9, v12 offset1:1
	ds_write2st64_b32 v51, v15, v48 offset0:2 offset1:3
	s_waitcnt lgkmcnt(0)
	s_barrier
	buffer_gl0_inv
	ds_read2st64_b32 v[8:9], v42 offset1:4
	ds_read2st64_b32 v[12:13], v42 offset0:8 offset1:12
	ds_read2st64_b32 v[10:11], v42 offset0:16 offset1:20
	ds_read_b32 v15, v42 offset:6144
	s_and_saveexec_b32 s0, vcc_lo
	s_cbranch_execz .LBB0_7
; %bb.6:
	v_add_nc_u32_e32 v14, 0x80, v42
	ds_read2st64_b32 v[25:26], v14 offset0:3 offset1:7
	ds_read2st64_b32 v[27:28], v14 offset0:11 offset1:15
	;; [unrolled: 1-line block ×3, first 2 shown]
	ds_read_b32 v36, v42 offset:7040
	s_waitcnt lgkmcnt(3)
	v_lshrrev_b32_e32 v14, 16, v25
	v_lshrrev_b32_e32 v33, 16, v26
	s_waitcnt lgkmcnt(2)
	v_lshrrev_b32_e32 v32, 16, v27
	v_lshrrev_b32_e32 v31, 16, v28
	;; [unrolled: 3-line block ×3, first 2 shown]
	s_waitcnt lgkmcnt(0)
	v_lshrrev_b32_e32 v55, 16, v36
.LBB0_7:
	s_or_b32 exec_lo, exec_lo, s0
	s_waitcnt lgkmcnt(3)
	v_lshrrev_b32_e32 v16, 16, v9
	s_waitcnt lgkmcnt(2)
	v_lshrrev_b32_e32 v17, 16, v12
	v_lshrrev_b32_e32 v18, 16, v13
	v_mul_f16_sdwa v19, v4, v9 dst_sel:DWORD dst_unused:UNUSED_PAD src0_sel:WORD_1 src1_sel:DWORD
	s_waitcnt lgkmcnt(1)
	v_lshrrev_b32_e32 v47, 16, v10
	v_mul_f16_sdwa v48, v4, v16 dst_sel:DWORD dst_unused:UNUSED_PAD src0_sel:WORD_1 src1_sel:DWORD
	v_lshrrev_b32_e32 v49, 16, v11
	s_waitcnt lgkmcnt(0)
	v_lshrrev_b32_e32 v50, 16, v15
	v_fma_f16 v16, v4, v16, -v19
	v_mul_f16_sdwa v19, v5, v17 dst_sel:DWORD dst_unused:UNUSED_PAD src0_sel:WORD_1 src1_sel:DWORD
	v_fmac_f16_e32 v48, v4, v9
	v_mul_f16_sdwa v4, v5, v12 dst_sel:DWORD dst_unused:UNUSED_PAD src0_sel:WORD_1 src1_sel:DWORD
	v_mul_f16_sdwa v9, v6, v18 dst_sel:DWORD dst_unused:UNUSED_PAD src0_sel:WORD_1 src1_sel:DWORD
	;; [unrolled: 1-line block ×4, first 2 shown]
	v_fmac_f16_e32 v19, v5, v12
	v_fma_f16 v4, v5, v17, -v4
	v_fmac_f16_e32 v9, v6, v13
	v_fma_f16 v5, v6, v18, -v51
	v_fmac_f16_e32 v52, v7, v10
	v_mul_f16_sdwa v6, v24, v50 dst_sel:DWORD dst_unused:UNUSED_PAD src0_sel:WORD_1 src1_sel:DWORD
	v_mul_f16_sdwa v12, v24, v15 dst_sel:DWORD dst_unused:UNUSED_PAD src0_sel:WORD_1 src1_sel:DWORD
	v_mul_f16_sdwa v10, v7, v10 dst_sel:DWORD dst_unused:UNUSED_PAD src0_sel:WORD_1 src1_sel:DWORD
	v_mul_f16_sdwa v13, v23, v49 dst_sel:DWORD dst_unused:UNUSED_PAD src0_sel:WORD_1 src1_sel:DWORD
	v_mul_f16_sdwa v17, v23, v11 dst_sel:DWORD dst_unused:UNUSED_PAD src0_sel:WORD_1 src1_sel:DWORD
	v_fmac_f16_e32 v6, v24, v15
	v_fma_f16 v12, v24, v50, -v12
	v_fma_f16 v7, v7, v47, -v10
	v_fmac_f16_e32 v13, v23, v11
	v_fma_f16 v10, v23, v49, -v17
	v_add_f16_e32 v11, v48, v6
	v_add_f16_e32 v15, v16, v12
	v_sub_f16_e32 v12, v16, v12
	v_add_f16_e32 v16, v19, v13
	v_add_f16_e32 v17, v4, v10
	v_sub_f16_e32 v13, v19, v13
	v_sub_f16_e32 v4, v4, v10
	v_add_f16_e32 v10, v9, v52
	v_add_f16_e32 v18, v5, v7
	v_sub_f16_e32 v9, v52, v9
	;; [unrolled: 4-line block ×3, first 2 shown]
	v_sub_f16_e32 v23, v16, v11
	v_sub_f16_e32 v24, v17, v15
	;; [unrolled: 1-line block ×6, first 2 shown]
	v_add_f16_e32 v47, v9, v13
	v_add_f16_e32 v48, v5, v4
	v_sub_f16_e32 v49, v9, v13
	v_sub_f16_e32 v50, v5, v4
	v_add_f16_e32 v7, v10, v7
	v_add_f16_e32 v10, v18, v19
	v_sub_f16_e32 v13, v13, v6
	v_sub_f16_e32 v4, v4, v12
	;; [unrolled: 1-line block ×4, first 2 shown]
	v_add_f16_e32 v6, v47, v6
	v_add_f16_e32 v12, v48, v12
	;; [unrolled: 1-line block ×3, first 2 shown]
	v_add_f16_sdwa v8, v8, v10 dst_sel:DWORD dst_unused:UNUSED_PAD src0_sel:WORD_1 src1_sel:DWORD
	v_mul_f16_e32 v11, 0x3a52, v11
	v_mul_f16_e32 v15, 0x3a52, v15
	;; [unrolled: 1-line block ×8, first 2 shown]
	v_fmamk_f16 v7, v7, 0xbcab, v18
	v_fmamk_f16 v10, v10, 0xbcab, v8
	;; [unrolled: 1-line block ×4, first 2 shown]
	v_fma_f16 v19, v23, 0x39e0, -v19
	v_fma_f16 v47, v24, 0x39e0, -v47
	;; [unrolled: 1-line block ×4, first 2 shown]
	v_fmamk_f16 v23, v9, 0xb574, v48
	v_fmamk_f16 v24, v5, 0xb574, v49
	v_fma_f16 v13, v13, 0xbb00, -v48
	v_fma_f16 v4, v4, 0xbb00, -v49
	;; [unrolled: 1-line block ×4, first 2 shown]
	v_add_f16_e32 v16, v16, v7
	v_add_f16_e32 v17, v17, v10
	v_fmac_f16_e32 v23, 0xb70e, v6
	v_fmac_f16_e32 v24, 0xb70e, v12
	v_add_f16_e32 v19, v19, v7
	v_add_f16_e32 v47, v47, v10
	;; [unrolled: 1-line block ×4, first 2 shown]
	v_fmac_f16_e32 v13, 0xb70e, v6
	v_fmac_f16_e32 v5, 0xb70e, v12
	;; [unrolled: 1-line block ×4, first 2 shown]
	v_add_f16_e32 v6, v24, v16
	v_sub_f16_e32 v11, v17, v23
	v_add_f16_e32 v12, v5, v7
	v_sub_f16_e32 v15, v10, v9
	v_sub_f16_e32 v48, v19, v4
	v_add_f16_e32 v49, v13, v47
	v_add_f16_e32 v4, v4, v19
	v_sub_f16_e32 v13, v47, v13
	v_sub_f16_e32 v5, v7, v5
	v_add_f16_e32 v7, v9, v10
	v_sub_f16_e32 v9, v16, v24
	v_add_f16_e32 v10, v23, v17
	v_pack_b32_f16 v8, v18, v8
	v_pack_b32_f16 v6, v6, v11
	;; [unrolled: 1-line block ×7, first 2 shown]
	ds_write2st64_b32 v42, v8, v6 offset1:4
	ds_write2st64_b32 v42, v11, v12 offset0:8 offset1:12
	ds_write2st64_b32 v42, v4, v5 offset0:16 offset1:20
	ds_write_b32 v42, v7 offset:6144
	s_and_saveexec_b32 s0, vcc_lo
	s_cbranch_execz .LBB0_9
; %bb.8:
	v_mul_f16_sdwa v4, v0, v33 dst_sel:DWORD dst_unused:UNUSED_PAD src0_sel:WORD_1 src1_sel:DWORD
	v_mul_f16_sdwa v7, v1, v32 dst_sel:DWORD dst_unused:UNUSED_PAD src0_sel:WORD_1 src1_sel:DWORD
	;; [unrolled: 1-line block ×9, first 2 shown]
	v_fmac_f16_e32 v7, v1, v27
	v_fmac_f16_e32 v4, v0, v26
	;; [unrolled: 1-line block ×3, first 2 shown]
	v_fma_f16 v12, v22, v55, -v12
	v_fma_f16 v0, v0, v33, -v16
	v_mul_f16_sdwa v16, v2, v28 dst_sel:DWORD dst_unused:UNUSED_PAD src0_sel:WORD_1 src1_sel:DWORD
	v_mul_f16_sdwa v22, v3, v29 dst_sel:DWORD dst_unused:UNUSED_PAD src0_sel:WORD_1 src1_sel:DWORD
	v_fma_f16 v18, v21, v35, -v18
	v_fma_f16 v1, v1, v32, -v19
	v_mul_f16_sdwa v8, v21, v35 dst_sel:DWORD dst_unused:UNUSED_PAD src0_sel:WORD_1 src1_sel:DWORD
	v_fmac_f16_e32 v5, v3, v29
	v_fmac_f16_e32 v6, v2, v28
	v_add_f16_e32 v19, v12, v0
	v_fma_f16 v2, v2, v31, -v16
	v_fma_f16 v3, v3, v34, -v22
	v_add_f16_e32 v16, v18, v1
	v_fmac_f16_e32 v8, v21, v30
	v_sub_f16_e32 v13, v4, v9
	v_add_f16_e32 v4, v9, v4
	v_add_f16_e32 v22, v2, v3
	;; [unrolled: 1-line block ×3, first 2 shown]
	v_sub_f16_e32 v11, v7, v8
	v_add_f16_e32 v7, v8, v7
	v_sub_f16_e32 v10, v5, v6
	v_sub_f16_e32 v24, v19, v22
	v_add_f16_e32 v23, v22, v23
	v_add_f16_e32 v5, v6, v5
	v_sub_f16_e32 v2, v3, v2
	v_sub_f16_e32 v1, v1, v18
	v_mul_f16_e32 v9, 0x3a52, v24
	v_add_f16_e32 v6, v14, v23
	v_add_f16_e32 v14, v7, v4
	v_sub_f16_e32 v24, v4, v5
	v_sub_f16_e32 v0, v0, v12
	;; [unrolled: 1-line block ×4, first 2 shown]
	v_add_f16_e32 v14, v5, v14
	v_mul_f16_e32 v3, 0x3a52, v24
	v_sub_f16_e32 v5, v5, v7
	v_sub_f16_e32 v12, v2, v1
	;; [unrolled: 1-line block ×3, first 2 shown]
	v_add_f16_e32 v18, v25, v14
	v_add_f16_e32 v10, v10, v11
	v_sub_f16_e32 v25, v0, v2
	v_sub_f16_e32 v11, v11, v13
	v_add_f16_e32 v2, v2, v1
	v_sub_f16_e32 v16, v16, v19
	v_sub_f16_e32 v1, v1, v0
	v_mul_f16_e32 v15, 0x3846, v15
	v_mul_f16_e32 v22, 0x2b26, v8
	v_fmamk_f16 v24, v5, 0x2b26, v3
	v_fmamk_f16 v14, v14, 0xbcab, v18
	v_mul_f16_e32 v12, 0x3846, v12
	v_fmamk_f16 v8, v8, 0x2b26, v9
	v_mul_f16_e32 v5, 0x2b26, v5
	v_mul_f16_e32 v27, 0xbb00, v11
	v_sub_f16_e32 v4, v7, v4
	v_fma_f16 v7, v16, 0xb9e0, -v9
	v_mul_f16_e32 v9, 0xbb00, v1
	v_fmamk_f16 v21, v17, 0xb574, v15
	v_add_f16_e32 v10, v10, v13
	v_fmamk_f16 v23, v23, 0xbcab, v6
	v_add_f16_e32 v13, v24, v14
	v_fmamk_f16 v24, v25, 0xb574, v12
	v_add_f16_e32 v0, v2, v0
	v_fma_f16 v16, v16, 0x39e0, -v22
	v_fma_f16 v11, v11, 0xbb00, -v15
	;; [unrolled: 1-line block ×7, first 2 shown]
	v_fmac_f16_e32 v21, 0xb70e, v10
	v_add_f16_e32 v8, v8, v23
	v_fmac_f16_e32 v24, 0xb70e, v0
	v_add_f16_e32 v5, v16, v23
	v_fmac_f16_e32 v11, 0xb70e, v10
	v_fmac_f16_e32 v2, 0xb70e, v10
	v_add_f16_e32 v7, v7, v23
	v_add_f16_e32 v3, v3, v14
	v_fmac_f16_e32 v9, 0xb70e, v0
	v_fmac_f16_e32 v1, 0xb70e, v0
	v_add_f16_e32 v0, v4, v14
	v_add_f16_e32 v26, v21, v8
	v_sub_f16_e32 v14, v5, v11
	v_add_f16_e32 v5, v11, v5
	v_sub_f16_e32 v8, v8, v21
	v_add_f16_e32 v11, v24, v13
	v_add_f16_e32 v10, v2, v7
	v_sub_f16_e32 v12, v3, v9
	v_add_f16_e32 v15, v1, v0
	v_sub_f16_e32 v2, v7, v2
	;; [unrolled: 2-line block ×3, first 2 shown]
	v_sub_f16_e32 v4, v13, v24
	v_pack_b32_f16 v1, v18, v6
	v_pack_b32_f16 v6, v11, v8
	v_add_nc_u32_e32 v7, 0x80, v42
	v_pack_b32_f16 v2, v3, v2
	v_pack_b32_f16 v0, v0, v5
	;; [unrolled: 1-line block ×5, first 2 shown]
	ds_write2st64_b32 v7, v1, v6 offset0:3 offset1:7
	ds_write2st64_b32 v7, v2, v0 offset0:11 offset1:15
	;; [unrolled: 1-line block ×3, first 2 shown]
	ds_write_b32 v42, v4 offset:7040
.LBB0_9:
	s_or_b32 exec_lo, exec_lo, s0
	s_waitcnt lgkmcnt(0)
	s_barrier
	buffer_gl0_inv
	ds_read2_b32 v[5:6], v42 offset1:224
	v_add_nc_u32_e32 v0, 0x700, v42
	s_mov_b32 s6, 0x92492492
	s_mov_b32 s7, 0x3f424924
	s_mul_i32 s3, s8, 0x700
	ds_read2_b32 v[2:3], v0 offset1:224
	s_waitcnt lgkmcnt(1)
	v_lshrrev_b32_e32 v0, 16, v5
	v_mul_f16_sdwa v1, v44, v5 dst_sel:DWORD dst_unused:UNUSED_PAD src0_sel:WORD_1 src1_sel:DWORD
	v_mul_f16_sdwa v7, v44, v0 dst_sel:DWORD dst_unused:UNUSED_PAD src0_sel:WORD_1 src1_sel:DWORD
	v_fma_f16 v0, v44, v0, -v1
	v_add_nc_u32_e32 v1, 0xe00, v42
	s_waitcnt lgkmcnt(0)
	v_lshrrev_b32_e32 v13, 16, v2
	v_mul_f16_sdwa v9, v46, v2 dst_sel:DWORD dst_unused:UNUSED_PAD src0_sel:WORD_1 src1_sel:DWORD
	v_fmac_f16_e32 v7, v44, v5
	v_cvt_f32_f16_e32 v8, v0
	ds_read2_b32 v[0:1], v1 offset1:224
	v_mul_f16_sdwa v15, v46, v13 dst_sel:DWORD dst_unused:UNUSED_PAD src0_sel:WORD_1 src1_sel:DWORD
	v_fma_f16 v14, v46, v13, -v9
	v_cvt_f32_f16_e32 v11, v7
	v_cvt_f64_f32_e32 v[7:8], v8
	v_mad_u64_u32 v[9:10], null, s8, v43, 0
	v_cvt_f32_f16_e32 v13, v14
	v_cvt_f64_f32_e32 v[11:12], v11
	v_mad_u64_u32 v[4:5], null, s10, v20, 0
	v_fmac_f16_e32 v15, v46, v2
	v_cvt_f64_f32_e32 v[13:14], v13
	v_mov_b32_e32 v2, v10
	v_cvt_f32_f16_e32 v10, v15
	v_mad_u64_u32 v[15:16], null, s11, v20, v[5:6]
	v_mad_u64_u32 v[16:17], null, s9, v43, v[2:3]
	s_waitcnt lgkmcnt(0)
	v_lshrrev_b32_e32 v2, 16, v0
	v_cvt_f64_f32_e32 v[17:18], v10
	v_mov_b32_e32 v5, v15
	v_mul_f64 v[7:8], v[7:8], s[6:7]
	v_mul_f16_sdwa v19, v45, v2 dst_sel:DWORD dst_unused:UNUSED_PAD src0_sel:WORD_1 src1_sel:DWORD
	v_mul_f16_sdwa v15, v45, v0 dst_sel:DWORD dst_unused:UNUSED_PAD src0_sel:WORD_1 src1_sel:DWORD
	v_mov_b32_e32 v10, v16
	v_mul_f64 v[11:12], v[11:12], s[6:7]
	v_lshlrev_b64 v[4:5], 2, v[4:5]
	v_fmac_f16_e32 v19, v45, v0
	v_fma_f16 v0, v45, v2, -v15
	v_mul_f64 v[13:14], v[13:14], s[6:7]
	v_lshlrev_b64 v[9:10], 2, v[9:10]
	v_cvt_f32_f16_e32 v2, v19
	v_add_co_u32 v19, vcc_lo, s4, v4
	v_add_co_ci_u32_e32 v20, vcc_lo, s5, v5, vcc_lo
	v_cvt_f64_f32_e32 v[4:5], v2
	v_cvt_f32_f16_e32 v0, v0
	v_mul_f64 v[15:16], v[17:18], s[6:7]
	v_and_or_b32 v2, 0x1ff, v8, v7
	v_lshrrev_b32_e32 v7, 8, v8
	v_bfe_u32 v17, v8, 20, 11
	v_lshrrev_b32_e32 v18, 16, v8
	v_and_or_b32 v8, 0x1ff, v12, v11
	v_cmp_ne_u32_e32 vcc_lo, 0, v2
	v_lshrrev_b32_e32 v11, 8, v12
	v_bfe_u32 v21, v12, 20, 11
	v_and_or_b32 v13, 0x1ff, v14, v13
	v_sub_nc_u32_e32 v22, 0x3f1, v17
	v_cndmask_b32_e64 v2, 0, 1, vcc_lo
	v_cmp_ne_u32_e32 vcc_lo, 0, v8
	v_sub_nc_u32_e32 v25, 0x3f1, v21
	v_add_nc_u32_e32 v17, 0xfffffc10, v17
	v_bfe_u32 v24, v14, 20, 11
	v_and_or_b32 v2, 0xffe, v7, v2
	v_cndmask_b32_e64 v8, 0, 1, vcc_lo
	v_cmp_ne_u32_e32 vcc_lo, 0, v13
	v_and_or_b32 v15, 0x1ff, v16, v15
	v_lshrrev_b32_e32 v23, 8, v14
	v_med3_i32 v7, v22, 0, 13
	v_and_or_b32 v8, 0xffe, v11, v8
	v_cndmask_b32_e64 v13, 0, 1, vcc_lo
	v_med3_i32 v11, v25, 0, 13
	v_cmp_ne_u32_e32 vcc_lo, 0, v2
	v_sub_nc_u32_e32 v27, 0x3f1, v24
	v_or_b32_e32 v29, 0x1000, v8
	v_or_b32_e32 v25, 0x1000, v2
	v_lshl_or_b32 v28, v17, 12, v2
	v_cndmask_b32_e64 v2, 0, 1, vcc_lo
	v_cmp_ne_u32_e32 vcc_lo, 0, v15
	v_lshrrev_b32_e32 v31, v11, v29
	v_add_nc_u32_e32 v21, 0xfffffc10, v21
	v_and_or_b32 v13, 0xffe, v23, v13
	v_med3_i32 v23, v27, 0, 13
	v_cndmask_b32_e64 v15, 0, 1, vcc_lo
	v_lshrrev_b32_e32 v27, v7, v25
	v_lshlrev_b32_e32 v11, v11, v31
	v_cmp_ne_u32_e32 vcc_lo, 0, v8
	v_lshrrev_b32_e32 v22, 8, v16
	v_bfe_u32 v26, v16, 20, 11
	v_lshl_or_b32 v32, v21, 12, v8
	v_lshlrev_b32_e32 v7, v7, v27
	v_cndmask_b32_e64 v8, 0, 1, vcc_lo
	v_cmp_ne_u32_e32 vcc_lo, v11, v29
	v_sub_nc_u32_e32 v30, 0x3f1, v26
	v_and_or_b32 v15, 0xffe, v22, v15
	v_add_nc_u32_e32 v26, 0xfffffc10, v26
	v_lshl_or_b32 v8, v8, 9, 0x7c00
	v_cndmask_b32_e64 v11, 0, 1, vcc_lo
	v_cmp_ne_u32_e32 vcc_lo, v7, v25
	v_med3_i32 v22, v30, 0, 13
	v_or_b32_e32 v25, 0x1000, v15
	v_lshl_or_b32 v30, v26, 12, v15
	v_or_b32_e32 v11, v31, v11
	v_cndmask_b32_e64 v7, 0, 1, vcc_lo
	v_cmp_gt_i32_e32 vcc_lo, 1, v21
	v_lshrrev_b32_e32 v12, 16, v12
	v_lshl_or_b32 v2, v2, 9, 0x7c00
	v_or_b32_e32 v29, 0x1000, v13
	v_or_b32_e32 v7, v27, v7
	v_lshrrev_b32_e32 v27, v22, v25
	v_cndmask_b32_e32 v11, v32, v11, vcc_lo
	v_cmp_gt_i32_e32 vcc_lo, 1, v17
	v_lshrrev_b32_e32 v14, 16, v14
	v_lshlrev_b32_e32 v22, v22, v27
	v_cndmask_b32_e32 v7, v28, v7, vcc_lo
	v_and_b32_e32 v28, 7, v11
	v_lshrrev_b32_e32 v11, 2, v11
	v_cmp_ne_u32_e32 vcc_lo, v22, v25
	v_and_b32_e32 v31, 7, v7
	v_cmp_eq_u32_e64 s0, 3, v28
	v_lshrrev_b32_e32 v7, 2, v7
	v_cndmask_b32_e64 v22, 0, 1, vcc_lo
	v_cmp_lt_i32_e32 vcc_lo, 5, v28
	v_cmp_lt_i32_e64 s1, 5, v31
	v_cmp_eq_u32_e64 s2, 3, v31
	v_or_b32_e32 v22, v27, v22
	s_or_b32 vcc_lo, s0, vcc_lo
	v_add_co_ci_u32_e32 v11, vcc_lo, 0, v11, vcc_lo
	s_or_b32 vcc_lo, s2, s1
	s_mul_hi_u32 s2, s8, 0x700
	v_add_co_ci_u32_e32 v7, vcc_lo, 0, v7, vcc_lo
	v_cmp_gt_i32_e32 vcc_lo, 31, v21
	v_cndmask_b32_e32 v11, 0x7c00, v11, vcc_lo
	v_cmp_gt_i32_e32 vcc_lo, 31, v17
	v_cndmask_b32_e32 v7, 0x7c00, v7, vcc_lo
	v_cmp_eq_u32_e32 vcc_lo, 0x40f, v21
	v_cndmask_b32_e32 v8, v11, v8, vcc_lo
	v_cmp_gt_i32_e32 vcc_lo, 1, v26
	v_and_or_b32 v12, 0x8000, v12, v8
	v_cndmask_b32_e32 v11, v30, v22, vcc_lo
	v_cmp_eq_u32_e32 vcc_lo, 0x40f, v17
	v_and_b32_e32 v12, 0xffff, v12
	v_lshrrev_b32_e32 v17, 2, v11
	v_cndmask_b32_e32 v2, v7, v2, vcc_lo
	v_mul_f64 v[7:8], v[4:5], s[6:7]
	v_lshrrev_b32_e32 v4, v23, v29
	v_and_b32_e32 v5, 7, v11
	v_add_co_u32 v9, vcc_lo, v19, v9
	v_and_or_b32 v2, 0x8000, v18, v2
	v_add_co_ci_u32_e32 v10, vcc_lo, v20, v10, vcc_lo
	v_cmp_lt_i32_e32 vcc_lo, 5, v5
	v_cmp_eq_u32_e64 s0, 3, v5
	v_lshl_or_b32 v2, v2, 16, v12
	v_lshlrev_b32_e32 v12, v23, v4
	v_add_nc_u32_e32 v18, 0xfffffc10, v24
	s_or_b32 vcc_lo, s0, vcc_lo
	global_store_dword v[9:10], v2, off
	v_cmp_ne_u32_e64 s1, v12, v29
	v_cvt_f64_f32_e32 v[11:12], v0
	v_add_co_ci_u32_e32 v0, vcc_lo, 0, v17, vcc_lo
	v_cmp_ne_u32_e32 vcc_lo, 0, v15
	v_cndmask_b32_e64 v2, 0, 1, s1
	v_and_or_b32 v5, 0x1ff, v8, v7
	v_add_nc_u32_e32 v15, 0x1500, v42
	v_bfe_u32 v19, v8, 20, 11
	v_cndmask_b32_e64 v7, 0, 1, vcc_lo
	v_or_b32_e32 v2, v4, v2
	v_lshl_or_b32 v4, v18, 12, v13
	v_cmp_gt_i32_e32 vcc_lo, 1, v18
	v_lshl_or_b32 v7, v7, 9, 0x7c00
	v_cndmask_b32_e32 v2, v4, v2, vcc_lo
	v_cmp_ne_u32_e32 vcc_lo, 0, v5
	ds_read2_b32 v[4:5], v15 offset1:224
	v_lshrrev_b32_e32 v15, 8, v8
	v_and_b32_e32 v20, 7, v2
	v_cndmask_b32_e64 v17, 0, 1, vcc_lo
	v_cmp_gt_i32_e32 vcc_lo, 31, v26
	v_mul_f64 v[11:12], v[11:12], s[6:7]
	v_lshrrev_b32_e32 v2, 2, v2
	v_cmp_eq_u32_e64 s0, 3, v20
	v_and_or_b32 v17, 0xffe, v15, v17
	v_cndmask_b32_e32 v0, 0x7c00, v0, vcc_lo
	v_cmp_eq_u32_e32 vcc_lo, 0x40f, v26
	v_sub_nc_u32_e32 v15, 0x3f1, v19
	v_add_nc_u32_e32 v19, 0xfffffc10, v19
	v_cndmask_b32_e32 v0, v0, v7, vcc_lo
	v_cmp_lt_i32_e32 vcc_lo, 5, v20
	v_lshrrev_b32_e32 v7, 16, v16
	v_or_b32_e32 v16, 0x1000, v17
	v_med3_i32 v15, v15, 0, 13
	s_waitcnt lgkmcnt(0)
	v_lshrrev_b32_e32 v20, 16, v4
	s_or_b32 vcc_lo, s0, vcc_lo
	v_and_or_b32 v0, 0x8000, v7, v0
	v_add_co_ci_u32_e32 v2, vcc_lo, 0, v2, vcc_lo
	v_lshrrev_b32_e32 v7, v15, v16
	v_cmp_ne_u32_e32 vcc_lo, 0, v13
	v_mul_f16_sdwa v21, v41, v20 dst_sel:DWORD dst_unused:UNUSED_PAD src0_sel:WORD_1 src1_sel:DWORD
	v_and_or_b32 v11, 0x1ff, v12, v11
	v_bfe_u32 v23, v12, 20, 11
	v_lshlrev_b32_e32 v15, v15, v7
	v_cndmask_b32_e64 v13, 0, 1, vcc_lo
	v_cmp_gt_i32_e32 vcc_lo, 31, v18
	v_fmac_f16_e32 v21, v41, v4
	v_and_b32_e32 v0, 0xffff, v0
	s_mul_i32 s0, s9, 0x700
	v_lshl_or_b32 v13, v13, 9, 0x7c00
	v_cndmask_b32_e32 v2, 0x7c00, v2, vcc_lo
	v_cmp_ne_u32_e32 vcc_lo, v15, v16
	v_cvt_f32_f16_e32 v15, v21
	v_lshrrev_b32_e32 v21, 8, v12
	s_add_i32 s2, s2, s0
	v_mul_f16_sdwa v4, v41, v4 dst_sel:DWORD dst_unused:UNUSED_PAD src0_sel:WORD_1 src1_sel:DWORD
	v_cndmask_b32_e64 v22, 0, 1, vcc_lo
	v_cmp_ne_u32_e32 vcc_lo, 0, v11
	v_cvt_f64_f32_e32 v[15:16], v15
	v_fma_f16 v4, v41, v20, -v4
	v_or_b32_e32 v7, v7, v22
	v_cndmask_b32_e64 v11, 0, 1, vcc_lo
	v_cmp_eq_u32_e32 vcc_lo, 0x40f, v18
	v_sub_nc_u32_e32 v18, 0x3f1, v23
	v_cvt_f32_f16_e32 v4, v4
	v_and_or_b32 v11, 0xffe, v21, v11
	v_cndmask_b32_e32 v2, v2, v13, vcc_lo
	v_lshl_or_b32 v13, v19, 12, v17
	v_cmp_gt_i32_e32 vcc_lo, 1, v19
	v_or_b32_e32 v21, 0x1000, v11
	v_and_or_b32 v2, 0x8000, v14, v2
	v_cndmask_b32_e32 v7, v13, v7, vcc_lo
	v_med3_i32 v13, v18, 0, 13
	v_lshl_or_b32 v0, v2, 16, v0
	v_and_b32_e32 v14, 7, v7
	v_lshrrev_b32_e32 v18, v13, v21
	v_lshrrev_b32_e32 v7, 2, v7
	v_cmp_lt_i32_e32 vcc_lo, 5, v14
	v_lshlrev_b32_e32 v2, v13, v18
	v_cmp_eq_u32_e64 s0, 3, v14
	v_mul_f64 v[13:14], v[15:16], s[6:7]
	v_cmp_ne_u32_e64 s1, v2, v21
	s_or_b32 vcc_lo, s0, vcc_lo
	v_add_nc_u32_e32 v21, 0xfffffc10, v23
	v_add_co_ci_u32_e32 v7, vcc_lo, 0, v7, vcc_lo
	v_cndmask_b32_e64 v2, 0, 1, s1
	v_cmp_ne_u32_e32 vcc_lo, 0, v17
	v_lshl_or_b32 v15, v21, 12, v11
	v_or_b32_e32 v2, v18, v2
	v_cndmask_b32_e64 v17, 0, 1, vcc_lo
	v_cmp_gt_i32_e32 vcc_lo, 1, v21
	v_lshrrev_b32_e32 v18, 16, v6
	v_cndmask_b32_e32 v2, v15, v2, vcc_lo
	v_cvt_f64_f32_e32 v[15:16], v4
	v_cmp_gt_i32_e32 vcc_lo, 31, v19
	v_and_or_b32 v13, 0x1ff, v14, v13
	v_cndmask_b32_e32 v4, 0x7c00, v7, vcc_lo
	v_lshl_or_b32 v7, v17, 9, 0x7c00
	v_and_b32_e32 v17, 7, v2
	v_cmp_eq_u32_e32 vcc_lo, 0x40f, v19
	v_cmp_ne_u32_e64 s1, 0, v13
	v_lshrrev_b32_e32 v2, 2, v2
	v_lshrrev_b32_e32 v13, 8, v14
	v_cmp_eq_u32_e64 s0, 3, v17
	v_cndmask_b32_e32 v4, v4, v7, vcc_lo
	v_cmp_lt_i32_e32 vcc_lo, 5, v17
	v_cndmask_b32_e64 v7, 0, 1, s1
	v_bfe_u32 v17, v14, 20, 11
	v_mul_f16_sdwa v19, v40, v18 dst_sel:DWORD dst_unused:UNUSED_PAD src0_sel:WORD_1 src1_sel:DWORD
	s_or_b32 vcc_lo, s0, vcc_lo
	v_and_or_b32 v13, 0xffe, v13, v7
	v_add_co_ci_u32_e32 v2, vcc_lo, 0, v2, vcc_lo
	v_mul_f64 v[15:16], v[15:16], s[6:7]
	v_cmp_ne_u32_e32 vcc_lo, 0, v11
	v_sub_nc_u32_e32 v7, 0x3f1, v17
	v_fmac_f16_e32 v19, v40, v6
	v_or_b32_e32 v20, 0x1000, v13
	v_add_nc_u32_e32 v17, 0xfffffc10, v17
	v_cndmask_b32_e64 v11, 0, 1, vcc_lo
	v_cmp_gt_i32_e32 vcc_lo, 31, v21
	v_med3_i32 v22, v7, 0, 13
	v_mul_f16_sdwa v6, v40, v6 dst_sel:DWORD dst_unused:UNUSED_PAD src0_sel:WORD_1 src1_sel:DWORD
	v_lshl_or_b32 v7, v11, 9, 0x7c00
	v_cndmask_b32_e32 v2, 0x7c00, v2, vcc_lo
	v_cvt_f32_f16_e32 v11, v19
	v_cmp_eq_u32_e32 vcc_lo, 0x40f, v21
	v_lshrrev_b32_e32 v23, v22, v20
	v_lshrrev_b32_e32 v19, 16, v8
	v_fma_f16 v6, v40, v18, -v6
	v_cndmask_b32_e32 v2, v2, v7, vcc_lo
	v_cvt_f64_f32_e32 v[7:8], v11
	v_lshrrev_b32_e32 v11, 16, v12
	v_lshlrev_b32_e32 v12, v22, v23
	v_add_co_u32 v9, vcc_lo, v9, s3
	v_add_co_ci_u32_e32 v10, vcc_lo, s2, v10, vcc_lo
	v_and_or_b32 v15, 0x1ff, v16, v15
	v_cmp_ne_u32_e32 vcc_lo, v12, v20
	v_and_or_b32 v2, 0x8000, v11, v2
	v_and_or_b32 v4, 0x8000, v19, v4
	v_bfe_u32 v19, v16, 20, 11
	v_lshl_or_b32 v20, v17, 12, v13
	v_cndmask_b32_e64 v11, 0, 1, vcc_lo
	v_cmp_ne_u32_e32 vcc_lo, 0, v15
	v_lshrrev_b32_e32 v15, 8, v16
	v_and_b32_e32 v4, 0xffff, v4
	global_store_dword v[9:10], v0, off
	v_or_b32_e32 v11, v23, v11
	v_cndmask_b32_e64 v12, 0, 1, vcc_lo
	v_cmp_gt_i32_e32 vcc_lo, 1, v17
	v_lshl_or_b32 v0, v2, 16, v4
	v_mul_f64 v[7:8], v[7:8], s[6:7]
	v_cvt_f32_f16_e32 v6, v6
	v_and_or_b32 v15, 0xffe, v15, v12
	v_sub_nc_u32_e32 v12, 0x3f1, v19
	v_cndmask_b32_e32 v20, v20, v11, vcc_lo
	v_add_co_u32 v9, vcc_lo, v9, s3
	v_or_b32_e32 v21, 0x1000, v15
	v_med3_i32 v11, v12, 0, 13
	v_and_b32_e32 v2, 7, v20
	v_add_co_ci_u32_e32 v10, vcc_lo, s2, v10, vcc_lo
	v_lshrrev_b32_e32 v4, v11, v21
	v_cmp_lt_i32_e32 vcc_lo, 5, v2
	v_cmp_eq_u32_e64 s0, 3, v2
	v_lshrrev_b32_e32 v2, 2, v20
	global_store_dword v[9:10], v0, off
	v_lshlrev_b32_e32 v18, v11, v4
	v_cvt_f64_f32_e32 v[11:12], v6
	s_or_b32 vcc_lo, s0, vcc_lo
	v_and_or_b32 v7, 0x1ff, v8, v7
	v_cmp_ne_u32_e64 s1, v18, v21
	v_add_co_ci_u32_e32 v2, vcc_lo, 0, v2, vcc_lo
	v_add_nc_u32_e32 v18, 0xfffffc10, v19
	v_cmp_ne_u32_e32 vcc_lo, 0, v7
	v_cndmask_b32_e64 v6, 0, 1, s1
	v_lshrrev_b32_e32 v7, 8, v8
	v_bfe_u32 v19, v8, 20, 11
	v_lshl_or_b32 v20, v18, 12, v15
	v_lshrrev_b32_e32 v8, 16, v8
	v_or_b32_e32 v4, v4, v6
	v_cndmask_b32_e64 v6, 0, 1, vcc_lo
	v_cmp_ne_u32_e32 vcc_lo, 0, v13
	v_sub_nc_u32_e32 v22, 0x3f1, v19
	v_add_nc_u32_e32 v19, 0xfffffc10, v19
	v_and_or_b32 v21, 0xffe, v7, v6
	v_cndmask_b32_e64 v13, 0, 1, vcc_lo
	v_mul_f64 v[6:7], v[11:12], s[6:7]
	v_cmp_gt_i32_e32 vcc_lo, 1, v18
	v_med3_i32 v12, v22, 0, 13
	v_or_b32_e32 v11, 0x1000, v21
	v_lshl_or_b32 v13, v13, 9, 0x7c00
	v_cndmask_b32_e32 v4, v20, v4, vcc_lo
	v_lshrrev_b32_e32 v20, 16, v3
	v_cmp_gt_i32_e32 vcc_lo, 31, v17
	v_lshrrev_b32_e32 v24, v12, v11
	v_and_b32_e32 v22, 7, v4
	v_mul_f16_sdwa v23, v39, v20 dst_sel:DWORD dst_unused:UNUSED_PAD src0_sel:WORD_1 src1_sel:DWORD
	v_cndmask_b32_e32 v2, 0x7c00, v2, vcc_lo
	v_cmp_eq_u32_e32 vcc_lo, 0x40f, v17
	v_lshlrev_b32_e32 v12, v12, v24
	v_cmp_eq_u32_e64 s0, 3, v22
	v_fmac_f16_e32 v23, v39, v3
	v_lshrrev_b32_e32 v4, 2, v4
	v_cndmask_b32_e32 v2, v2, v13, vcc_lo
	v_cmp_lt_i32_e32 vcc_lo, 5, v22
	v_lshrrev_b32_e32 v13, 16, v14
	v_cvt_f32_f16_e32 v14, v23
	v_and_or_b32 v6, 0x1ff, v7, v6
	v_cmp_ne_u32_e64 s1, v12, v11
	s_or_b32 vcc_lo, s0, vcc_lo
	v_lshrrev_b32_e32 v22, 8, v7
	v_cvt_f64_f32_e32 v[11:12], v14
	v_add_co_ci_u32_e32 v4, vcc_lo, 0, v4, vcc_lo
	v_cmp_ne_u32_e32 vcc_lo, 0, v6
	v_cndmask_b32_e64 v17, 0, 1, s1
	v_bfe_u32 v23, v7, 20, 11
	v_and_or_b32 v2, 0x8000, v13, v2
	v_mul_f16_sdwa v3, v39, v3 dst_sel:DWORD dst_unused:UNUSED_PAD src0_sel:WORD_1 src1_sel:DWORD
	v_cndmask_b32_e64 v6, 0, 1, vcc_lo
	v_cmp_ne_u32_e32 vcc_lo, 0, v15
	v_or_b32_e32 v14, v24, v17
	v_lshl_or_b32 v17, v19, 12, v21
	v_fma_f16 v3, v39, v20, -v3
	v_and_or_b32 v6, 0xffe, v22, v6
	v_cndmask_b32_e64 v15, 0, 1, vcc_lo
	v_cmp_gt_i32_e32 vcc_lo, 1, v19
	v_or_b32_e32 v24, 0x1000, v6
	v_lshl_or_b32 v15, v15, 9, 0x7c00
	v_cndmask_b32_e32 v14, v17, v14, vcc_lo
	v_cmp_gt_i32_e32 vcc_lo, 31, v18
	v_sub_nc_u32_e32 v17, 0x3f1, v23
	v_mul_f64 v[11:12], v[11:12], s[6:7]
	v_and_b32_e32 v22, 7, v14
	v_cndmask_b32_e32 v4, 0x7c00, v4, vcc_lo
	v_cmp_eq_u32_e32 vcc_lo, 0x40f, v18
	v_med3_i32 v17, v17, 0, 13
	v_lshrrev_b32_e32 v14, 2, v14
	v_cmp_eq_u32_e64 s0, 3, v22
	v_cndmask_b32_e32 v4, v4, v15, vcc_lo
	v_cmp_lt_i32_e32 vcc_lo, 5, v22
	v_lshrrev_b32_e32 v15, 16, v16
	v_lshrrev_b32_e32 v13, v17, v24
	s_or_b32 vcc_lo, s0, vcc_lo
	v_and_or_b32 v4, 0x8000, v15, v4
	v_add_co_ci_u32_e32 v14, vcc_lo, 0, v14, vcc_lo
	v_and_b32_e32 v15, 0xffff, v2
	v_lshlrev_b32_e32 v2, v17, v13
	v_cmp_ne_u32_e32 vcc_lo, 0, v21
	v_and_or_b32 v11, 0x1ff, v12, v11
	v_add_nc_u32_e32 v17, 0xfffffc10, v23
	v_lshrrev_b32_e32 v18, 8, v12
	v_bfe_u32 v20, v12, 20, 11
	v_cndmask_b32_e64 v16, 0, 1, vcc_lo
	v_cmp_ne_u32_e32 vcc_lo, v2, v24
	v_lshl_or_b32 v21, v17, 12, v6
	v_lshl_or_b32 v15, v4, 16, v15
	v_lshrrev_b32_e32 v12, 16, v12
	v_lshl_or_b32 v16, v16, 9, 0x7c00
	v_cndmask_b32_e64 v2, 0, 1, vcc_lo
	v_cmp_gt_i32_e32 vcc_lo, 31, v19
	v_or_b32_e32 v13, v13, v2
	v_cndmask_b32_e32 v14, 0x7c00, v14, vcc_lo
	v_cmp_ne_u32_e32 vcc_lo, 0, v11
	v_cvt_f32_f16_e32 v2, v3
	v_cndmask_b32_e64 v11, 0, 1, vcc_lo
	v_cmp_eq_u32_e32 vcc_lo, 0x40f, v19
	v_cvt_f64_f32_e32 v[2:3], v2
	v_lshrrev_b32_e32 v19, 16, v1
	v_cndmask_b32_e32 v14, v14, v16, vcc_lo
	v_cmp_gt_i32_e32 vcc_lo, 1, v17
	v_and_or_b32 v16, 0xffe, v18, v11
	v_sub_nc_u32_e32 v11, 0x3f1, v20
	v_and_or_b32 v4, 0x8000, v8, v14
	v_cndmask_b32_e32 v13, v21, v13, vcc_lo
	v_or_b32_e32 v18, 0x1000, v16
	v_med3_i32 v11, v11, 0, 13
	v_and_b32_e32 v4, 0xffff, v4
	v_and_b32_e32 v0, 7, v13
	v_lshrrev_b32_e32 v8, v11, v18
	v_cmp_lt_i32_e32 vcc_lo, 5, v0
	v_cmp_eq_u32_e64 s0, 3, v0
	v_lshrrev_b32_e32 v0, 2, v13
	v_lshlrev_b32_e32 v11, v11, v8
	v_mul_f16_sdwa v13, v38, v19 dst_sel:DWORD dst_unused:UNUSED_PAD src0_sel:WORD_1 src1_sel:DWORD
	v_mul_f64 v[2:3], v[2:3], s[6:7]
	s_or_b32 vcc_lo, s0, vcc_lo
	v_add_co_ci_u32_e32 v0, vcc_lo, 0, v0, vcc_lo
	v_cmp_ne_u32_e32 vcc_lo, 0, v6
	v_fmac_f16_e32 v13, v38, v1
	v_mul_f16_sdwa v1, v38, v1 dst_sel:DWORD dst_unused:UNUSED_PAD src0_sel:WORD_1 src1_sel:DWORD
	v_cndmask_b32_e64 v6, 0, 1, vcc_lo
	v_cmp_ne_u32_e32 vcc_lo, v11, v18
	v_cvt_f32_f16_e32 v13, v13
	v_add_nc_u32_e32 v18, 0xfffffc10, v20
	v_fma_f16 v1, v38, v19, -v1
	v_lshl_or_b32 v6, v6, 9, 0x7c00
	v_cndmask_b32_e64 v11, 0, 1, vcc_lo
	v_cmp_gt_i32_e32 vcc_lo, 31, v17
	v_cvt_f64_f32_e32 v[13:14], v13
	v_lshrrev_b32_e32 v19, 16, v5
	v_or_b32_e32 v8, v8, v11
	v_cndmask_b32_e32 v0, 0x7c00, v0, vcc_lo
	v_cmp_eq_u32_e32 vcc_lo, 0x40f, v17
	v_lshl_or_b32 v11, v18, 12, v16
	v_and_or_b32 v2, 0x1ff, v3, v2
	v_lshrrev_b32_e32 v17, 16, v7
	v_cndmask_b32_e32 v0, v0, v6, vcc_lo
	v_cmp_gt_i32_e32 vcc_lo, 1, v18
	v_and_or_b32 v0, 0x8000, v17, v0
	v_cndmask_b32_e32 v20, v11, v8, vcc_lo
	v_add_co_u32 v6, vcc_lo, v9, s3
	v_add_co_ci_u32_e32 v7, vcc_lo, s2, v10, vcc_lo
	v_cmp_ne_u32_e32 vcc_lo, 0, v2
	v_and_b32_e32 v8, 7, v20
	v_lshrrev_b32_e32 v9, 8, v3
	v_bfe_u32 v17, v3, 20, 11
	v_lshl_or_b32 v21, v0, 16, v4
	v_cndmask_b32_e64 v2, 0, 1, vcc_lo
	v_cmp_lt_i32_e32 vcc_lo, 5, v8
	v_cmp_eq_u32_e64 s0, 3, v8
	v_lshrrev_b32_e32 v4, 2, v20
	v_sub_nc_u32_e32 v0, 0x3f1, v17
	v_and_or_b32 v2, 0xffe, v9, v2
	v_mul_f64 v[8:9], v[13:14], s[6:7]
	s_or_b32 vcc_lo, s0, vcc_lo
	v_mad_u64_u32 v[10:11], null, 0xffffee80, s8, v[6:7]
	v_add_co_ci_u32_e32 v4, vcc_lo, 0, v4, vcc_lo
	v_or_b32_e32 v13, 0x1000, v2
	v_med3_i32 v0, v0, 0, 13
	v_cmp_ne_u32_e32 vcc_lo, 0, v16
	s_mul_i32 s0, s9, 0xffffee80
	v_mul_f16_sdwa v20, v37, v19 dst_sel:DWORD dst_unused:UNUSED_PAD src0_sel:WORD_1 src1_sel:DWORD
	s_sub_i32 s0, s0, s8
	v_lshrrev_b32_e32 v16, v0, v13
	v_cndmask_b32_e64 v14, 0, 1, vcc_lo
	v_cmp_gt_i32_e32 vcc_lo, 31, v18
	v_add_nc_u32_e32 v11, s0, v11
	v_fmac_f16_e32 v20, v37, v5
	v_lshlrev_b32_e32 v0, v0, v16
	v_lshl_or_b32 v14, v14, 9, 0x7c00
	v_cndmask_b32_e32 v4, 0x7c00, v4, vcc_lo
	v_cmp_eq_u32_e32 vcc_lo, 0x40f, v18
	v_mul_f16_sdwa v5, v37, v5 dst_sel:DWORD dst_unused:UNUSED_PAD src0_sel:WORD_1 src1_sel:DWORD
	v_and_or_b32 v8, 0x1ff, v9, v8
	v_bfe_u32 v18, v9, 20, 11
	v_cndmask_b32_e32 v4, v4, v14, vcc_lo
	v_cmp_ne_u32_e32 vcc_lo, v0, v13
	v_add_nc_u32_e32 v14, 0xfffffc10, v17
	v_cvt_f32_f16_e32 v0, v1
	v_lshrrev_b32_e32 v17, 8, v9
	v_and_or_b32 v23, 0x8000, v12, v4
	v_cndmask_b32_e64 v13, 0, 1, vcc_lo
	v_cmp_ne_u32_e32 vcc_lo, 0, v8
	v_cvt_f64_f32_e32 v[0:1], v0
	v_fma_f16 v5, v37, v19, -v5
	v_lshrrev_b32_e32 v9, 16, v9
	v_or_b32_e32 v13, v16, v13
	v_cndmask_b32_e64 v8, 0, 1, vcc_lo
	v_lshl_or_b32 v16, v14, 12, v2
	v_cmp_gt_i32_e32 vcc_lo, 1, v14
	v_and_or_b32 v8, 0xffe, v17, v8
	v_sub_nc_u32_e32 v17, 0x3f1, v18
	v_cndmask_b32_e32 v13, v16, v13, vcc_lo
	v_or_b32_e32 v16, 0x1000, v8
	v_med3_i32 v17, v17, 0, 13
	v_and_b32_e32 v22, 7, v13
	v_lshrrev_b32_e32 v12, 2, v13
	v_cvt_f32_f16_e32 v13, v20
	v_lshrrev_b32_e32 v4, v17, v16
	v_cmp_lt_i32_e32 vcc_lo, 5, v22
	v_cmp_eq_u32_e64 s0, 3, v22
	v_mul_f64 v[0:1], v[0:1], s[6:7]
	v_lshlrev_b32_e32 v17, v17, v4
	s_or_b32 vcc_lo, s0, vcc_lo
	v_add_co_ci_u32_e32 v20, vcc_lo, 0, v12, vcc_lo
	v_cmp_ne_u32_e32 vcc_lo, v17, v16
	v_cvt_f64_f32_e32 v[12:13], v13
	v_add_nc_u32_e32 v17, 0xfffffc10, v18
	v_cndmask_b32_e64 v16, 0, 1, vcc_lo
	v_cmp_ne_u32_e32 vcc_lo, 0, v2
	v_or_b32_e32 v4, v4, v16
	v_cndmask_b32_e64 v2, 0, 1, vcc_lo
	v_cmp_gt_i32_e32 vcc_lo, 31, v14
	v_lshl_or_b32 v16, v17, 12, v8
	v_and_or_b32 v0, 0x1ff, v1, v0
	v_lshl_or_b32 v2, v2, 9, 0x7c00
	v_cndmask_b32_e32 v18, 0x7c00, v20, vcc_lo
	v_cmp_gt_i32_e32 vcc_lo, 1, v17
	v_cndmask_b32_e32 v16, v16, v4, vcc_lo
	v_cvt_f32_f16_e32 v4, v5
	v_cmp_eq_u32_e32 vcc_lo, 0x40f, v14
	v_and_b32_e32 v19, 7, v16
	v_lshrrev_b32_e32 v16, 2, v16
	v_cndmask_b32_e32 v14, v18, v2, vcc_lo
	v_lshrrev_b32_e32 v18, 16, v3
	v_cvt_f64_f32_e32 v[2:3], v4
	v_mul_f64 v[4:5], v[12:13], s[6:7]
	v_cmp_ne_u32_e32 vcc_lo, 0, v0
	v_lshrrev_b32_e32 v12, 8, v1
	v_bfe_u32 v13, v1, 20, 11
	v_cmp_eq_u32_e64 s0, 3, v19
	v_and_or_b32 v14, 0x8000, v18, v14
	v_cndmask_b32_e64 v0, 0, 1, vcc_lo
	v_cmp_lt_i32_e32 vcc_lo, 5, v19
	v_and_b32_e32 v18, 0xffff, v23
	v_lshrrev_b32_e32 v1, 16, v1
	v_and_or_b32 v0, 0xffe, v12, v0
	v_sub_nc_u32_e32 v12, 0x3f1, v13
	s_or_b32 vcc_lo, s0, vcc_lo
	v_lshl_or_b32 v14, v14, 16, v18
	v_add_co_ci_u32_e32 v16, vcc_lo, 0, v16, vcc_lo
	v_or_b32_e32 v18, 0x1000, v0
	v_med3_i32 v12, v12, 0, 13
	v_cmp_ne_u32_e32 vcc_lo, 0, v8
	v_add_nc_u32_e32 v13, 0xfffffc10, v13
	v_mul_f64 v[2:3], v[2:3], s[6:7]
	v_and_or_b32 v4, 0x1ff, v5, v4
	v_lshrrev_b32_e32 v19, v12, v18
	v_cndmask_b32_e64 v8, 0, 1, vcc_lo
	v_cmp_gt_i32_e32 vcc_lo, 31, v17
	v_lshrrev_b32_e32 v20, 8, v5
	v_bfe_u32 v22, v5, 20, 11
	v_lshlrev_b32_e32 v12, v12, v19
	v_lshl_or_b32 v8, v8, 9, 0x7c00
	v_cndmask_b32_e32 v16, 0x7c00, v16, vcc_lo
	v_cmp_ne_u32_e32 vcc_lo, 0, v4
	v_lshrrev_b32_e32 v5, 16, v5
	v_cndmask_b32_e64 v4, 0, 1, vcc_lo
	v_cmp_ne_u32_e32 vcc_lo, v12, v18
	v_sub_nc_u32_e32 v18, 0x3f1, v22
	v_and_or_b32 v4, 0xffe, v20, v4
	v_cndmask_b32_e64 v12, 0, 1, vcc_lo
	v_cmp_eq_u32_e32 vcc_lo, 0x40f, v17
	v_med3_i32 v18, v18, 0, 13
	v_and_or_b32 v2, 0x1ff, v3, v2
	v_or_b32_e32 v17, 0x1000, v4
	v_or_b32_e32 v12, v19, v12
	v_cndmask_b32_e32 v8, v16, v8, vcc_lo
	v_lshl_or_b32 v16, v13, 12, v0
	v_cmp_gt_i32_e32 vcc_lo, 1, v13
	v_lshrrev_b32_e32 v19, 8, v3
	v_bfe_u32 v20, v3, 20, 11
	v_and_or_b32 v8, 0x8000, v9, v8
	v_lshrrev_b32_e32 v3, 16, v3
	v_cndmask_b32_e32 v12, v16, v12, vcc_lo
	v_lshrrev_b32_e32 v16, v18, v17
	v_cmp_ne_u32_e32 vcc_lo, 0, v2
	v_sub_nc_u32_e32 v9, 0x3f1, v20
	v_and_b32_e32 v8, 0xffff, v8
	v_and_b32_e32 v23, 7, v12
	v_lshlrev_b32_e32 v18, v18, v16
	v_cndmask_b32_e64 v2, 0, 1, vcc_lo
	v_lshrrev_b32_e32 v12, 2, v12
	v_med3_i32 v9, v9, 0, 13
	v_cmp_lt_i32_e32 vcc_lo, 5, v23
	v_cmp_ne_u32_e64 s0, v18, v17
	v_and_or_b32 v2, 0xffe, v19, v2
	v_add_nc_u32_e32 v19, 0xfffffc10, v22
	v_cndmask_b32_e64 v17, 0, 1, s0
	v_cmp_eq_u32_e64 s0, 3, v23
	v_or_b32_e32 v18, 0x1000, v2
	v_lshl_or_b32 v22, v19, 12, v4
	v_or_b32_e32 v16, v16, v17
	s_or_b32 vcc_lo, s0, vcc_lo
	v_lshrrev_b32_e32 v17, v9, v18
	v_add_co_ci_u32_e32 v12, vcc_lo, 0, v12, vcc_lo
	v_cmp_gt_i32_e32 vcc_lo, 1, v19
	v_lshlrev_b32_e32 v9, v9, v17
	v_cndmask_b32_e32 v16, v22, v16, vcc_lo
	v_cmp_ne_u32_e32 vcc_lo, 0, v0
	v_cndmask_b32_e64 v0, 0, 1, vcc_lo
	v_cmp_ne_u32_e32 vcc_lo, v9, v18
	v_add_nc_u32_e32 v18, 0xfffffc10, v20
	v_and_b32_e32 v20, 7, v16
	v_lshl_or_b32 v0, v0, 9, 0x7c00
	v_cndmask_b32_e64 v9, 0, 1, vcc_lo
	v_cmp_gt_i32_e32 vcc_lo, 31, v13
	v_cmp_gt_i32_e64 s1, 1, v18
	v_cmp_eq_u32_e64 s0, 3, v20
	v_or_b32_e32 v9, v17, v9
	v_lshl_or_b32 v17, v18, 12, v2
	v_cndmask_b32_e32 v12, 0x7c00, v12, vcc_lo
	v_cmp_lt_i32_e32 vcc_lo, 5, v20
	v_cndmask_b32_e64 v9, v17, v9, s1
	v_cmp_eq_u32_e64 s1, 0x40f, v13
	s_or_b32 vcc_lo, s0, vcc_lo
	v_and_b32_e32 v13, 7, v9
	v_cndmask_b32_e64 v0, v12, v0, s1
	v_lshrrev_b32_e32 v12, 2, v16
	v_lshrrev_b32_e32 v9, 2, v9
	v_cmp_gt_i32_e64 s1, 31, v19
	v_cmp_eq_u32_e64 s0, 3, v13
	v_add_co_ci_u32_e32 v12, vcc_lo, 0, v12, vcc_lo
	v_cmp_ne_u32_e32 vcc_lo, 0, v4
	v_cndmask_b32_e64 v12, 0x7c00, v12, s1
	v_cndmask_b32_e64 v4, 0, 1, vcc_lo
	v_cmp_lt_i32_e32 vcc_lo, 5, v13
	v_lshl_or_b32 v4, v4, 9, 0x7c00
	s_or_b32 vcc_lo, s0, vcc_lo
	v_add_co_ci_u32_e32 v9, vcc_lo, 0, v9, vcc_lo
	v_cmp_ne_u32_e32 vcc_lo, 0, v2
	v_cndmask_b32_e64 v2, 0, 1, vcc_lo
	v_cmp_eq_u32_e32 vcc_lo, 0x40f, v19
	v_lshl_or_b32 v2, v2, 9, 0x7c00
	v_cndmask_b32_e32 v4, v12, v4, vcc_lo
	v_cmp_gt_i32_e32 vcc_lo, 31, v18
	v_and_or_b32 v12, 0x8000, v1, v0
	v_and_or_b32 v4, 0x8000, v5, v4
	v_cndmask_b32_e32 v9, 0x7c00, v9, vcc_lo
	v_cmp_eq_u32_e32 vcc_lo, 0x40f, v18
	v_lshl_or_b32 v8, v12, 16, v8
	v_and_b32_e32 v4, 0xffff, v4
	v_cndmask_b32_e32 v2, v9, v2, vcc_lo
	v_add_co_u32 v0, vcc_lo, v10, s3
	v_add_co_ci_u32_e32 v1, vcc_lo, s2, v11, vcc_lo
	v_and_or_b32 v5, 0x8000, v3, v2
	v_add_co_u32 v2, vcc_lo, v0, s3
	v_add_co_ci_u32_e32 v3, vcc_lo, s2, v1, vcc_lo
	v_lshl_or_b32 v9, v5, 16, v4
	v_add_co_u32 v4, vcc_lo, v2, s3
	v_add_co_ci_u32_e32 v5, vcc_lo, s2, v3, vcc_lo
	global_store_dword v[6:7], v15, off
	global_store_dword v[10:11], v21, off
	;; [unrolled: 1-line block ×5, first 2 shown]
.LBB0_10:
	s_endpgm
	.section	.rodata,"a",@progbits
	.p2align	6, 0x0
	.amdhsa_kernel bluestein_single_back_len1792_dim1_half_op_CI_CI
		.amdhsa_group_segment_fixed_size 7168
		.amdhsa_private_segment_fixed_size 0
		.amdhsa_kernarg_size 104
		.amdhsa_user_sgpr_count 6
		.amdhsa_user_sgpr_private_segment_buffer 1
		.amdhsa_user_sgpr_dispatch_ptr 0
		.amdhsa_user_sgpr_queue_ptr 0
		.amdhsa_user_sgpr_kernarg_segment_ptr 1
		.amdhsa_user_sgpr_dispatch_id 0
		.amdhsa_user_sgpr_flat_scratch_init 0
		.amdhsa_user_sgpr_private_segment_size 0
		.amdhsa_wavefront_size32 1
		.amdhsa_uses_dynamic_stack 0
		.amdhsa_system_sgpr_private_segment_wavefront_offset 0
		.amdhsa_system_sgpr_workgroup_id_x 1
		.amdhsa_system_sgpr_workgroup_id_y 0
		.amdhsa_system_sgpr_workgroup_id_z 0
		.amdhsa_system_sgpr_workgroup_info 0
		.amdhsa_system_vgpr_workitem_id 0
		.amdhsa_next_free_vgpr 87
		.amdhsa_next_free_sgpr 20
		.amdhsa_reserve_vcc 1
		.amdhsa_reserve_flat_scratch 0
		.amdhsa_float_round_mode_32 0
		.amdhsa_float_round_mode_16_64 0
		.amdhsa_float_denorm_mode_32 3
		.amdhsa_float_denorm_mode_16_64 3
		.amdhsa_dx10_clamp 1
		.amdhsa_ieee_mode 1
		.amdhsa_fp16_overflow 0
		.amdhsa_workgroup_processor_mode 1
		.amdhsa_memory_ordered 1
		.amdhsa_forward_progress 0
		.amdhsa_shared_vgpr_count 0
		.amdhsa_exception_fp_ieee_invalid_op 0
		.amdhsa_exception_fp_denorm_src 0
		.amdhsa_exception_fp_ieee_div_zero 0
		.amdhsa_exception_fp_ieee_overflow 0
		.amdhsa_exception_fp_ieee_underflow 0
		.amdhsa_exception_fp_ieee_inexact 0
		.amdhsa_exception_int_div_zero 0
	.end_amdhsa_kernel
	.text
.Lfunc_end0:
	.size	bluestein_single_back_len1792_dim1_half_op_CI_CI, .Lfunc_end0-bluestein_single_back_len1792_dim1_half_op_CI_CI
                                        ; -- End function
	.section	.AMDGPU.csdata,"",@progbits
; Kernel info:
; codeLenInByte = 13616
; NumSgprs: 22
; NumVgprs: 87
; ScratchSize: 0
; MemoryBound: 0
; FloatMode: 240
; IeeeMode: 1
; LDSByteSize: 7168 bytes/workgroup (compile time only)
; SGPRBlocks: 2
; VGPRBlocks: 10
; NumSGPRsForWavesPerEU: 22
; NumVGPRsForWavesPerEU: 87
; Occupancy: 10
; WaveLimiterHint : 1
; COMPUTE_PGM_RSRC2:SCRATCH_EN: 0
; COMPUTE_PGM_RSRC2:USER_SGPR: 6
; COMPUTE_PGM_RSRC2:TRAP_HANDLER: 0
; COMPUTE_PGM_RSRC2:TGID_X_EN: 1
; COMPUTE_PGM_RSRC2:TGID_Y_EN: 0
; COMPUTE_PGM_RSRC2:TGID_Z_EN: 0
; COMPUTE_PGM_RSRC2:TIDIG_COMP_CNT: 0
	.text
	.p2alignl 6, 3214868480
	.fill 48, 4, 3214868480
	.type	__hip_cuid_a0d6cee609d2483f,@object ; @__hip_cuid_a0d6cee609d2483f
	.section	.bss,"aw",@nobits
	.globl	__hip_cuid_a0d6cee609d2483f
__hip_cuid_a0d6cee609d2483f:
	.byte	0                               ; 0x0
	.size	__hip_cuid_a0d6cee609d2483f, 1

	.ident	"AMD clang version 19.0.0git (https://github.com/RadeonOpenCompute/llvm-project roc-6.4.0 25133 c7fe45cf4b819c5991fe208aaa96edf142730f1d)"
	.section	".note.GNU-stack","",@progbits
	.addrsig
	.addrsig_sym __hip_cuid_a0d6cee609d2483f
	.amdgpu_metadata
---
amdhsa.kernels:
  - .args:
      - .actual_access:  read_only
        .address_space:  global
        .offset:         0
        .size:           8
        .value_kind:     global_buffer
      - .actual_access:  read_only
        .address_space:  global
        .offset:         8
        .size:           8
        .value_kind:     global_buffer
      - .actual_access:  read_only
        .address_space:  global
        .offset:         16
        .size:           8
        .value_kind:     global_buffer
      - .actual_access:  read_only
        .address_space:  global
        .offset:         24
        .size:           8
        .value_kind:     global_buffer
      - .actual_access:  read_only
        .address_space:  global
        .offset:         32
        .size:           8
        .value_kind:     global_buffer
      - .offset:         40
        .size:           8
        .value_kind:     by_value
      - .address_space:  global
        .offset:         48
        .size:           8
        .value_kind:     global_buffer
      - .address_space:  global
        .offset:         56
        .size:           8
        .value_kind:     global_buffer
      - .address_space:  global
        .offset:         64
        .size:           8
        .value_kind:     global_buffer
      - .address_space:  global
        .offset:         72
        .size:           8
        .value_kind:     global_buffer
      - .offset:         80
        .size:           4
        .value_kind:     by_value
      - .address_space:  global
        .offset:         88
        .size:           8
        .value_kind:     global_buffer
      - .address_space:  global
        .offset:         96
        .size:           8
        .value_kind:     global_buffer
    .group_segment_fixed_size: 7168
    .kernarg_segment_align: 8
    .kernarg_segment_size: 104
    .language:       OpenCL C
    .language_version:
      - 2
      - 0
    .max_flat_workgroup_size: 224
    .name:           bluestein_single_back_len1792_dim1_half_op_CI_CI
    .private_segment_fixed_size: 0
    .sgpr_count:     22
    .sgpr_spill_count: 0
    .symbol:         bluestein_single_back_len1792_dim1_half_op_CI_CI.kd
    .uniform_work_group_size: 1
    .uses_dynamic_stack: false
    .vgpr_count:     87
    .vgpr_spill_count: 0
    .wavefront_size: 32
    .workgroup_processor_mode: 1
amdhsa.target:   amdgcn-amd-amdhsa--gfx1030
amdhsa.version:
  - 1
  - 2
...

	.end_amdgpu_metadata
